;; amdgpu-corpus repo=ROCm/rocSPARSE kind=compiled arch=gfx1100 opt=O3
	.text
	.amdgcn_target "amdgcn-amd-amdhsa--gfx1100"
	.amdhsa_code_object_version 6
	.section	.text._ZN9rocsparseL31gebsrmm_general_blockdim_kernelILi32ELi32EfEEv20rocsparse_direction_20rocsparse_operation_iiNS_24const_host_device_scalarIT1_EEPKiS7_PKS4_iiS9_lS5_PS4_l21rocsparse_index_base_b,"axG",@progbits,_ZN9rocsparseL31gebsrmm_general_blockdim_kernelILi32ELi32EfEEv20rocsparse_direction_20rocsparse_operation_iiNS_24const_host_device_scalarIT1_EEPKiS7_PKS4_iiS9_lS5_PS4_l21rocsparse_index_base_b,comdat
	.globl	_ZN9rocsparseL31gebsrmm_general_blockdim_kernelILi32ELi32EfEEv20rocsparse_direction_20rocsparse_operation_iiNS_24const_host_device_scalarIT1_EEPKiS7_PKS4_iiS9_lS5_PS4_l21rocsparse_index_base_b ; -- Begin function _ZN9rocsparseL31gebsrmm_general_blockdim_kernelILi32ELi32EfEEv20rocsparse_direction_20rocsparse_operation_iiNS_24const_host_device_scalarIT1_EEPKiS7_PKS4_iiS9_lS5_PS4_l21rocsparse_index_base_b
	.p2align	8
	.type	_ZN9rocsparseL31gebsrmm_general_blockdim_kernelILi32ELi32EfEEv20rocsparse_direction_20rocsparse_operation_iiNS_24const_host_device_scalarIT1_EEPKiS7_PKS4_iiS9_lS5_PS4_l21rocsparse_index_base_b,@function
_ZN9rocsparseL31gebsrmm_general_blockdim_kernelILi32ELi32EfEEv20rocsparse_direction_20rocsparse_operation_iiNS_24const_host_device_scalarIT1_EEPKiS7_PKS4_iiS9_lS5_PS4_l21rocsparse_index_base_b: ; @_ZN9rocsparseL31gebsrmm_general_blockdim_kernelILi32ELi32EfEEv20rocsparse_direction_20rocsparse_operation_iiNS_24const_host_device_scalarIT1_EEPKiS7_PKS4_iiS9_lS5_PS4_l21rocsparse_index_base_b
; %bb.0:
	s_clause 0x2
	s_load_b64 s[2:3], s[0:1], 0x60
	s_load_b64 s[12:13], s[0:1], 0x10
	s_load_b128 s[4:7], s[0:1], 0x40
	s_waitcnt lgkmcnt(0)
	s_bitcmp1_b32 s3, 0
	s_cselect_b32 s3, -1, 0
	s_delay_alu instid0(SALU_CYCLE_1)
	s_and_b32 vcc_lo, exec_lo, s3
	s_xor_b32 s3, s3, -1
	s_cbranch_vccnz .LBB0_2
; %bb.1:
	s_load_b32 s12, s[12:13], 0x0
.LBB0_2:
	s_and_not1_b32 vcc_lo, exec_lo, s3
	s_cbranch_vccnz .LBB0_4
; %bb.3:
	s_load_b32 s6, s[6:7], 0x0
.LBB0_4:
	s_waitcnt lgkmcnt(0)
	v_cmp_eq_f32_e64 s3, s12, 0
	v_cmp_eq_f32_e64 s7, s6, 1.0
	s_delay_alu instid0(VALU_DEP_1) | instskip(NEXT) | instid1(SALU_CYCLE_1)
	s_and_b32 s3, s3, s7
	s_and_b32 vcc_lo, exec_lo, s3
	s_mov_b32 s3, 0
	s_cbranch_vccnz .LBB0_49
; %bb.5:
	s_load_b128 s[16:19], s[0:1], 0x0
	s_mov_b32 s7, 0
	s_waitcnt lgkmcnt(0)
	s_cmp_lt_i32 s14, s18
	s_cselect_b32 s27, -1, 0
	s_cmp_ge_i32 s14, s18
	s_cbranch_scc1 .LBB0_7
; %bb.6:
	s_load_b64 s[8:9], s[0:1], 0x18
	s_mov_b32 s3, s15
	s_ashr_i32 s15, s14, 31
	s_delay_alu instid0(SALU_CYCLE_1)
	s_lshl_b64 s[10:11], s[14:15], 2
	s_mov_b32 s15, s3
	s_waitcnt lgkmcnt(0)
	s_add_u32 s8, s8, s10
	s_addc_u32 s9, s9, s11
	s_load_b64 s[8:9], s[8:9], 0x0
	s_waitcnt lgkmcnt(0)
	s_sub_i32 s7, s8, s2
	s_sub_i32 s3, s9, s2
.LBB0_7:
	s_load_b64 s[24:25], s[0:1], 0x30
	s_waitcnt lgkmcnt(0)
	s_cmp_lt_i32 s24, 1
	s_cbranch_scc1 .LBB0_49
; %bb.8:
	s_load_b128 s[20:23], s[0:1], 0x50
	v_bfe_u32 v1, v0, 10, 10
	s_clause 0x1
	s_load_b128 s[8:11], s[0:1], 0x20
	s_load_b64 s[28:29], s[0:1], 0x38
	v_and_b32_e32 v0, 0x3ff, v0
	s_cmp_lt_i32 s7, s3
	s_mul_i32 s13, s14, s24
	v_lshl_add_u32 v2, s15, 5, v1
	v_lshlrev_b32_e32 v11, 5, v1
	v_lshlrev_b32_e32 v15, 2, v0
	s_cselect_b32 s18, -1, 0
	s_cmp_gt_i32 s25, 0
	v_ashrrev_i32_e32 v3, 31, v2
	v_mul_lo_u32 v6, v2, s5
	v_mad_u64_u32 v[4:5], null, v2, s4, 0
	v_cmp_gt_i32_e64 s0, s19, v2
	s_delay_alu instid0(VALU_DEP_4)
	v_mul_lo_u32 v9, v3, s4
	v_lshlrev_b64 v[7:8], 2, v[2:3]
	s_cselect_b32 s26, -1, 0
	s_cmpk_lg_i32 s17, 0x6f
	s_waitcnt lgkmcnt(0)
	v_mul_lo_u32 v3, v3, s22
	v_mul_lo_u32 v10, v2, s23
	v_mad_u64_u32 v[13:14], null, v2, s22, 0
	v_add3_u32 v5, v5, v6, v9
	v_add_co_u32 v7, vcc_lo, s28, v7
	v_add_co_ci_u32_e32 v8, vcc_lo, s29, v8, vcc_lo
	v_add_lshl_u32 v9, v11, v0, 2
	v_add3_u32 v14, v14, v10, v3
	v_lshlrev_b64 v[3:4], 2, v[4:5]
	v_cmp_neq_f32_e64 s19, s6, 0
	v_lshl_add_u32 v16, v1, 7, 0x1000
	v_add_nc_u32_e32 v10, 0x1000, v9
	v_add_nc_u32_e32 v17, 0x400, v15
	;; [unrolled: 1-line block ×3, first 2 shown]
	v_add_co_u32 v11, vcc_lo, s28, v3
	v_add_co_ci_u32_e32 v12, vcc_lo, s29, v4, vcc_lo
	v_lshlrev_b64 v[2:3], 2, v[13:14]
	v_mad_u64_u32 v[4:5], null, s7, s24, v[0:1]
	v_add_nc_u32_e32 v19, 0xc00, v15
	s_cselect_b32 s22, -1, 0
	s_cmp_lg_u32 s16, 0
	s_delay_alu instid0(VALU_DEP_3) | instskip(SKIP_1) | instid1(VALU_DEP_4)
	v_add_co_u32 v13, vcc_lo, s20, v2
	v_add_co_ci_u32_e32 v14, vcc_lo, s21, v3, vcc_lo
	v_mad_u64_u32 v[2:3], null, s25, v4, v[1:2]
	s_mov_b32 s17, 0
	s_cselect_b32 s16, -1, 0
	s_and_b32 s20, s27, s0
	s_lshl_b32 s21, s25, 5
	s_mul_i32 s23, s25, s24
	s_branch .LBB0_10
.LBB0_9:                                ;   in Loop: Header=BB0_10 Depth=1
	s_or_b32 exec_lo, exec_lo, s1
	v_add_nc_u32_e32 v2, s21, v2
	s_add_i32 s17, s17, 32
	s_delay_alu instid0(SALU_CYCLE_1)
	s_cmp_lt_i32 s17, s24
	s_cbranch_scc0 .LBB0_49
.LBB0_10:                               ; =>This Loop Header: Depth=1
                                        ;     Child Loop BB0_13 Depth 2
                                        ;       Child Loop BB0_16 Depth 3
	v_dual_mov_b32 v20, 0 :: v_dual_add_nc_u32 v3, s17, v0
	s_and_not1_b32 vcc_lo, exec_lo, s18
	s_delay_alu instid0(VALU_DEP_1)
	v_cmp_gt_i32_e64 s1, s24, v3
	s_cbranch_vccnz .LBB0_44
; %bb.11:                               ;   in Loop: Header=BB0_10 Depth=1
	v_dual_mov_b32 v20, 0 :: v_dual_mov_b32 v21, v2
	s_mov_b32 s14, s7
	s_branch .LBB0_13
.LBB0_12:                               ;   in Loop: Header=BB0_13 Depth=2
	v_add_nc_u32_e32 v21, s23, v21
	s_add_i32 s14, s14, 1
	s_delay_alu instid0(SALU_CYCLE_1)
	s_cmp_ge_i32 s14, s3
	s_cbranch_scc1 .LBB0_44
.LBB0_13:                               ;   Parent Loop BB0_10 Depth=1
                                        ; =>  This Loop Header: Depth=2
                                        ;       Child Loop BB0_16 Depth 3
	s_and_not1_b32 vcc_lo, exec_lo, s26
	s_cbranch_vccnz .LBB0_12
; %bb.14:                               ;   in Loop: Header=BB0_13 Depth=2
	s_ashr_i32 s15, s14, 31
	s_mov_b32 s27, 0
	s_lshl_b64 s[28:29], s[14:15], 2
	s_delay_alu instid0(SALU_CYCLE_1) | instskip(SKIP_4) | instid1(SALU_CYCLE_1)
	s_add_u32 s28, s8, s28
	s_addc_u32 s29, s9, s29
	s_load_b32 s15, s[28:29], 0x0
	s_waitcnt lgkmcnt(0)
	s_sub_i32 s15, s15, s2
	v_mad_u64_u32 v[4:5], null, s15, s25, v[0:1]
	s_mul_i32 s15, s14, s25
	s_branch .LBB0_16
.LBB0_15:                               ;   in Loop: Header=BB0_16 Depth=3
	s_or_b32 exec_lo, exec_lo, s29
	s_waitcnt vmcnt(0)
	ds_store_b32 v9, v6
	s_waitcnt lgkmcnt(0)
	s_waitcnt_vscnt null, 0x0
	s_barrier
	buffer_gl0_inv
	ds_load_2addr_b32 v[5:6], v15 offset1:32
	ds_load_b128 v[22:25], v16
	ds_load_2addr_b32 v[30:31], v15 offset0:64 offset1:96
	ds_load_b128 v[26:29], v16 offset:16
	ds_load_2addr_b32 v[32:33], v15 offset0:128 offset1:160
	s_add_i32 s27, s27, 32
	s_delay_alu instid0(SALU_CYCLE_1) | instskip(SKIP_2) | instid1(VALU_DEP_1)
	s_cmp_ge_i32 s27, s25
	s_waitcnt lgkmcnt(3)
	v_fmac_f32_e32 v20, v5, v22
	v_fmac_f32_e32 v20, v6, v23
	ds_load_2addr_b32 v[5:6], v15 offset0:192 offset1:224
	s_waitcnt lgkmcnt(3)
	v_fmac_f32_e32 v20, v30, v24
	s_delay_alu instid0(VALU_DEP_1) | instskip(SKIP_4) | instid1(VALU_DEP_1)
	v_fmac_f32_e32 v20, v31, v25
	ds_load_2addr_b32 v[30:31], v17 offset1:32
	ds_load_b128 v[22:25], v16 offset:32
	s_waitcnt lgkmcnt(3)
	v_fmac_f32_e32 v20, v32, v26
	v_fmac_f32_e32 v20, v33, v27
	ds_load_2addr_b32 v[32:33], v17 offset0:64 offset1:96
	s_waitcnt lgkmcnt(3)
	v_fmac_f32_e32 v20, v5, v28
	s_delay_alu instid0(VALU_DEP_1) | instskip(SKIP_4) | instid1(VALU_DEP_1)
	v_fmac_f32_e32 v20, v6, v29
	ds_load_b128 v[26:29], v16 offset:48
	ds_load_2addr_b32 v[5:6], v17 offset0:128 offset1:160
	s_waitcnt lgkmcnt(3)
	v_fmac_f32_e32 v20, v30, v22
	v_fmac_f32_e32 v20, v31, v23
	ds_load_2addr_b32 v[30:31], v17 offset0:192 offset1:224
	s_waitcnt lgkmcnt(3)
	v_fmac_f32_e32 v20, v32, v24
	s_delay_alu instid0(VALU_DEP_1) | instskip(SKIP_4) | instid1(VALU_DEP_1)
	v_fmac_f32_e32 v20, v33, v25
	ds_load_2addr_b32 v[32:33], v18 offset1:32
	ds_load_b128 v[22:25], v16 offset:64
	s_waitcnt lgkmcnt(3)
	v_fmac_f32_e32 v20, v5, v26
	v_fmac_f32_e32 v20, v6, v27
	ds_load_2addr_b32 v[5:6], v18 offset0:64 offset1:96
	s_waitcnt lgkmcnt(3)
	v_fmac_f32_e32 v20, v30, v28
	s_delay_alu instid0(VALU_DEP_1) | instskip(SKIP_4) | instid1(VALU_DEP_1)
	v_fmac_f32_e32 v20, v31, v29
	ds_load_2addr_b32 v[30:31], v18 offset0:128 offset1:160
	ds_load_b128 v[26:29], v16 offset:80
	s_waitcnt lgkmcnt(3)
	v_fmac_f32_e32 v20, v32, v22
	v_fmac_f32_e32 v20, v33, v23
	ds_load_2addr_b32 v[32:33], v18 offset0:192 offset1:224
	s_waitcnt lgkmcnt(3)
	v_fmac_f32_e32 v20, v5, v24
	s_delay_alu instid0(VALU_DEP_1) | instskip(SKIP_4) | instid1(VALU_DEP_1)
	v_fmac_f32_e32 v20, v6, v25
	ds_load_2addr_b32 v[5:6], v19 offset1:32
	ds_load_b128 v[22:25], v16 offset:96
	s_waitcnt lgkmcnt(3)
	v_fmac_f32_e32 v20, v30, v26
	v_fmac_f32_e32 v20, v31, v27
	ds_load_2addr_b32 v[30:31], v19 offset0:64 offset1:96
	s_waitcnt lgkmcnt(3)
	v_fmac_f32_e32 v20, v32, v28
	s_delay_alu instid0(VALU_DEP_1) | instskip(SKIP_4) | instid1(VALU_DEP_1)
	v_fmac_f32_e32 v20, v33, v29
	ds_load_2addr_b32 v[32:33], v19 offset0:128 offset1:160
	ds_load_b128 v[26:29], v16 offset:112
	s_waitcnt lgkmcnt(3)
	v_fmac_f32_e32 v20, v5, v22
	v_fmac_f32_e32 v20, v6, v23
	ds_load_2addr_b32 v[5:6], v19 offset0:192 offset1:224
	s_waitcnt lgkmcnt(0)
	s_barrier
	buffer_gl0_inv
	v_fmac_f32_e32 v20, v30, v24
	s_delay_alu instid0(VALU_DEP_1) | instskip(NEXT) | instid1(VALU_DEP_1)
	v_fmac_f32_e32 v20, v31, v25
	v_fmac_f32_e32 v20, v32, v26
	s_delay_alu instid0(VALU_DEP_1) | instskip(NEXT) | instid1(VALU_DEP_1)
	v_fmac_f32_e32 v20, v33, v27
	v_fmac_f32_e32 v20, v5, v28
	s_delay_alu instid0(VALU_DEP_1)
	v_fmac_f32_e32 v20, v6, v29
	s_cbranch_scc1 .LBB0_12
.LBB0_16:                               ;   Parent Loop BB0_10 Depth=1
                                        ;     Parent Loop BB0_13 Depth=2
                                        ; =>    This Inner Loop Header: Depth=3
	s_and_b32 vcc_lo, exec_lo, s22
	s_cbranch_vccz .LBB0_22
; %bb.17:                               ;   in Loop: Header=BB0_16 Depth=3
	s_mov_b32 s29, 0
	s_mov_b32 s28, 0
                                        ; implicit-def: $vgpr5_vgpr6
	s_and_saveexec_b32 s30, s0
	s_cbranch_execz .LBB0_21
; %bb.18:                               ;   in Loop: Header=BB0_16 Depth=3
	v_add_nc_u32_e32 v5, s27, v0
	s_delay_alu instid0(VALU_DEP_1) | instskip(SKIP_1) | instid1(SALU_CYCLE_1)
	v_cmp_gt_i32_e32 vcc_lo, s25, v5
                                        ; implicit-def: $vgpr5_vgpr6
	s_and_saveexec_b32 s31, vcc_lo
	s_xor_b32 s31, exec_lo, s31
; %bb.19:                               ;   in Loop: Header=BB0_16 Depth=3
	v_add_nc_u32_e32 v22, s27, v4
	s_mov_b32 s28, exec_lo
	s_delay_alu instid0(VALU_DEP_1) | instskip(SKIP_2) | instid1(VALU_DEP_3)
	v_ashrrev_i32_e32 v23, 31, v22
	v_mul_lo_u32 v24, v22, s5
	v_mad_u64_u32 v[5:6], null, v22, s4, 0
	v_mul_lo_u32 v22, v23, s4
	s_delay_alu instid0(VALU_DEP_1) | instskip(NEXT) | instid1(VALU_DEP_1)
	v_add3_u32 v6, v6, v24, v22
	v_lshlrev_b64 v[5:6], 2, v[5:6]
	s_delay_alu instid0(VALU_DEP_1) | instskip(NEXT) | instid1(VALU_DEP_2)
	v_add_co_u32 v5, vcc_lo, v7, v5
	v_add_co_ci_u32_e32 v6, vcc_lo, v8, v6, vcc_lo
; %bb.20:                               ;   in Loop: Header=BB0_16 Depth=3
	s_or_b32 exec_lo, exec_lo, s31
	s_delay_alu instid0(SALU_CYCLE_1)
	s_and_b32 s28, s28, exec_lo
.LBB0_21:                               ;   in Loop: Header=BB0_16 Depth=3
	s_or_b32 exec_lo, exec_lo, s30
	s_delay_alu instid0(SALU_CYCLE_1)
	s_and_b32 vcc_lo, exec_lo, s29
	s_cbranch_vccnz .LBB0_23
	s_branch .LBB0_28
.LBB0_22:                               ;   in Loop: Header=BB0_16 Depth=3
	s_mov_b32 s29, -1
	s_mov_b32 s28, 0
                                        ; implicit-def: $vgpr5_vgpr6
	s_cbranch_execz .LBB0_28
.LBB0_23:                               ;   in Loop: Header=BB0_16 Depth=3
                                        ; implicit-def: $vgpr5_vgpr6
	s_and_saveexec_b32 s29, s0
	s_cbranch_execz .LBB0_27
; %bb.24:                               ;   in Loop: Header=BB0_16 Depth=3
	v_add_nc_u32_e32 v5, s27, v0
	s_mov_b32 s31, s28
	s_delay_alu instid0(VALU_DEP_1)
	v_cmp_gt_i32_e32 vcc_lo, s25, v5
                                        ; implicit-def: $vgpr5_vgpr6
	s_and_saveexec_b32 s30, vcc_lo
; %bb.25:                               ;   in Loop: Header=BB0_16 Depth=3
	v_add_nc_u32_e32 v5, s27, v4
	s_or_b32 s31, s28, exec_lo
	s_delay_alu instid0(VALU_DEP_1) | instskip(NEXT) | instid1(VALU_DEP_1)
	v_ashrrev_i32_e32 v6, 31, v5
	v_lshlrev_b64 v[5:6], 2, v[5:6]
	s_delay_alu instid0(VALU_DEP_1) | instskip(NEXT) | instid1(VALU_DEP_2)
	v_add_co_u32 v5, vcc_lo, v11, v5
	v_add_co_ci_u32_e32 v6, vcc_lo, v12, v6, vcc_lo
; %bb.26:                               ;   in Loop: Header=BB0_16 Depth=3
	s_or_b32 exec_lo, exec_lo, s30
	s_delay_alu instid0(SALU_CYCLE_1) | instskip(SKIP_1) | instid1(SALU_CYCLE_1)
	s_and_not1_b32 s28, s28, exec_lo
	s_and_b32 s30, s31, exec_lo
	s_or_b32 s28, s28, s30
.LBB0_27:                               ;   in Loop: Header=BB0_16 Depth=3
	s_or_b32 exec_lo, exec_lo, s29
	s_mov_b32 s29, 0
.LBB0_28:                               ;   in Loop: Header=BB0_16 Depth=3
	s_delay_alu instid0(SALU_CYCLE_1)
	v_mov_b32_e32 v22, s29
	s_and_saveexec_b32 s29, s28
	s_cbranch_execnz .LBB0_36
; %bb.29:                               ;   in Loop: Header=BB0_16 Depth=3
	s_or_b32 exec_lo, exec_lo, s29
	s_delay_alu instid0(SALU_CYCLE_1)
	s_and_b32 vcc_lo, exec_lo, s16
	ds_store_b32 v10, v22
	s_cbranch_vccz .LBB0_37
.LBB0_30:                               ;   in Loop: Header=BB0_16 Depth=3
	s_mov_b32 s29, 0
	s_mov_b32 s28, 0
                                        ; implicit-def: $vgpr5
	s_and_saveexec_b32 s30, s1
	s_cbranch_execz .LBB0_34
; %bb.31:                               ;   in Loop: Header=BB0_16 Depth=3
	v_add_nc_u32_e32 v6, s27, v1
	s_mov_b32 s31, exec_lo
                                        ; implicit-def: $vgpr5
	s_delay_alu instid0(VALU_DEP_1)
	v_cmpx_gt_i32_e64 s25, v6
	s_xor_b32 s31, exec_lo, s31
; %bb.32:                               ;   in Loop: Header=BB0_16 Depth=3
	v_add_nc_u32_e32 v22, s15, v6
	s_mov_b32 s28, exec_lo
	s_delay_alu instid0(VALU_DEP_1)
	v_mad_u64_u32 v[5:6], null, v22, s24, v[3:4]
; %bb.33:                               ;   in Loop: Header=BB0_16 Depth=3
	s_or_b32 exec_lo, exec_lo, s31
	s_delay_alu instid0(SALU_CYCLE_1)
	s_and_b32 s28, s28, exec_lo
.LBB0_34:                               ;   in Loop: Header=BB0_16 Depth=3
	s_or_b32 exec_lo, exec_lo, s30
	s_delay_alu instid0(SALU_CYCLE_1)
	s_and_b32 vcc_lo, exec_lo, s29
	s_cbranch_vccnz .LBB0_38
.LBB0_35:                               ;   in Loop: Header=BB0_16 Depth=3
	v_mov_b32_e32 v6, s29
	s_and_saveexec_b32 s29, s28
	s_cbranch_execz .LBB0_15
	s_branch .LBB0_43
.LBB0_36:                               ;   in Loop: Header=BB0_16 Depth=3
	global_load_b32 v22, v[5:6], off
	s_or_b32 exec_lo, exec_lo, s29
	s_delay_alu instid0(SALU_CYCLE_1)
	s_and_b32 vcc_lo, exec_lo, s16
	s_waitcnt vmcnt(0)
	ds_store_b32 v10, v22
	s_cbranch_vccnz .LBB0_30
.LBB0_37:                               ;   in Loop: Header=BB0_16 Depth=3
	s_mov_b32 s29, -1
	s_mov_b32 s28, 0
                                        ; implicit-def: $vgpr5
	s_cbranch_execz .LBB0_35
.LBB0_38:                               ;   in Loop: Header=BB0_16 Depth=3
                                        ; implicit-def: $vgpr5
	s_and_saveexec_b32 s29, s1
	s_cbranch_execz .LBB0_42
; %bb.39:                               ;   in Loop: Header=BB0_16 Depth=3
	v_add_nc_u32_e32 v5, s27, v1
	s_mov_b32 s30, s28
	s_delay_alu instid0(VALU_DEP_1)
	v_cmp_gt_i32_e32 vcc_lo, s25, v5
                                        ; implicit-def: $vgpr5
	s_and_saveexec_b32 s31, vcc_lo
; %bb.40:                               ;   in Loop: Header=BB0_16 Depth=3
	v_add_nc_u32_e32 v5, s27, v21
	s_or_b32 s30, s28, exec_lo
; %bb.41:                               ;   in Loop: Header=BB0_16 Depth=3
	s_or_b32 exec_lo, exec_lo, s31
	s_delay_alu instid0(SALU_CYCLE_1) | instskip(SKIP_1) | instid1(SALU_CYCLE_1)
	s_and_not1_b32 s28, s28, exec_lo
	s_and_b32 s30, s30, exec_lo
	s_or_b32 s28, s28, s30
.LBB0_42:                               ;   in Loop: Header=BB0_16 Depth=3
	s_or_b32 exec_lo, exec_lo, s29
	s_mov_b32 s29, 0
	s_delay_alu instid0(SALU_CYCLE_1)
	v_mov_b32_e32 v6, s29
	s_and_saveexec_b32 s29, s28
	s_cbranch_execz .LBB0_15
.LBB0_43:                               ;   in Loop: Header=BB0_16 Depth=3
	v_ashrrev_i32_e32 v6, 31, v5
	s_delay_alu instid0(VALU_DEP_1) | instskip(NEXT) | instid1(VALU_DEP_1)
	v_lshlrev_b64 v[5:6], 2, v[5:6]
	v_add_co_u32 v5, vcc_lo, s10, v5
	s_delay_alu instid0(VALU_DEP_2)
	v_add_co_ci_u32_e32 v6, vcc_lo, s11, v6, vcc_lo
	global_load_b32 v6, v[5:6], off
	s_branch .LBB0_15
.LBB0_44:                               ;   in Loop: Header=BB0_10 Depth=1
	v_cmp_gt_i32_e32 vcc_lo, s24, v3
	s_and_b32 s14, s20, vcc_lo
	s_delay_alu instid0(SALU_CYCLE_1)
	s_and_saveexec_b32 s1, s14
	s_cbranch_execz .LBB0_9
; %bb.45:                               ;   in Loop: Header=BB0_10 Depth=1
	v_add_nc_u32_e32 v3, s13, v3
	v_mul_f32_e32 v5, s12, v20
	s_and_b32 vcc_lo, exec_lo, s19
	s_delay_alu instid0(VALU_DEP_2)
	v_ashrrev_i32_e32 v4, 31, v3
	s_cbranch_vccz .LBB0_47
; %bb.46:                               ;   in Loop: Header=BB0_10 Depth=1
	s_delay_alu instid0(VALU_DEP_1) | instskip(NEXT) | instid1(VALU_DEP_1)
	v_lshlrev_b64 v[20:21], 2, v[3:4]
	v_add_co_u32 v20, vcc_lo, v13, v20
	s_delay_alu instid0(VALU_DEP_2)
	v_add_co_ci_u32_e32 v21, vcc_lo, v14, v21, vcc_lo
	global_load_b32 v6, v[20:21], off
	s_waitcnt vmcnt(0)
	v_fma_f32 v6, s6, v6, v5
	global_store_b32 v[20:21], v6, off
	s_cbranch_execnz .LBB0_9
	s_branch .LBB0_48
.LBB0_47:                               ;   in Loop: Header=BB0_10 Depth=1
.LBB0_48:                               ;   in Loop: Header=BB0_10 Depth=1
	s_delay_alu instid0(VALU_DEP_1) | instskip(NEXT) | instid1(VALU_DEP_1)
	v_lshlrev_b64 v[3:4], 2, v[3:4]
	v_add_co_u32 v3, vcc_lo, v13, v3
	s_delay_alu instid0(VALU_DEP_2)
	v_add_co_ci_u32_e32 v4, vcc_lo, v14, v4, vcc_lo
	global_store_b32 v[3:4], v5, off
	s_branch .LBB0_9
.LBB0_49:
	s_nop 0
	s_sendmsg sendmsg(MSG_DEALLOC_VGPRS)
	s_endpgm
	.section	.rodata,"a",@progbits
	.p2align	6, 0x0
	.amdhsa_kernel _ZN9rocsparseL31gebsrmm_general_blockdim_kernelILi32ELi32EfEEv20rocsparse_direction_20rocsparse_operation_iiNS_24const_host_device_scalarIT1_EEPKiS7_PKS4_iiS9_lS5_PS4_l21rocsparse_index_base_b
		.amdhsa_group_segment_fixed_size 8192
		.amdhsa_private_segment_fixed_size 0
		.amdhsa_kernarg_size 104
		.amdhsa_user_sgpr_count 14
		.amdhsa_user_sgpr_dispatch_ptr 0
		.amdhsa_user_sgpr_queue_ptr 0
		.amdhsa_user_sgpr_kernarg_segment_ptr 1
		.amdhsa_user_sgpr_dispatch_id 0
		.amdhsa_user_sgpr_private_segment_size 0
		.amdhsa_wavefront_size32 1
		.amdhsa_uses_dynamic_stack 0
		.amdhsa_enable_private_segment 0
		.amdhsa_system_sgpr_workgroup_id_x 1
		.amdhsa_system_sgpr_workgroup_id_y 1
		.amdhsa_system_sgpr_workgroup_id_z 0
		.amdhsa_system_sgpr_workgroup_info 0
		.amdhsa_system_vgpr_workitem_id 1
		.amdhsa_next_free_vgpr 34
		.amdhsa_next_free_sgpr 32
		.amdhsa_reserve_vcc 1
		.amdhsa_float_round_mode_32 0
		.amdhsa_float_round_mode_16_64 0
		.amdhsa_float_denorm_mode_32 3
		.amdhsa_float_denorm_mode_16_64 3
		.amdhsa_dx10_clamp 1
		.amdhsa_ieee_mode 1
		.amdhsa_fp16_overflow 0
		.amdhsa_workgroup_processor_mode 1
		.amdhsa_memory_ordered 1
		.amdhsa_forward_progress 0
		.amdhsa_shared_vgpr_count 0
		.amdhsa_exception_fp_ieee_invalid_op 0
		.amdhsa_exception_fp_denorm_src 0
		.amdhsa_exception_fp_ieee_div_zero 0
		.amdhsa_exception_fp_ieee_overflow 0
		.amdhsa_exception_fp_ieee_underflow 0
		.amdhsa_exception_fp_ieee_inexact 0
		.amdhsa_exception_int_div_zero 0
	.end_amdhsa_kernel
	.section	.text._ZN9rocsparseL31gebsrmm_general_blockdim_kernelILi32ELi32EfEEv20rocsparse_direction_20rocsparse_operation_iiNS_24const_host_device_scalarIT1_EEPKiS7_PKS4_iiS9_lS5_PS4_l21rocsparse_index_base_b,"axG",@progbits,_ZN9rocsparseL31gebsrmm_general_blockdim_kernelILi32ELi32EfEEv20rocsparse_direction_20rocsparse_operation_iiNS_24const_host_device_scalarIT1_EEPKiS7_PKS4_iiS9_lS5_PS4_l21rocsparse_index_base_b,comdat
.Lfunc_end0:
	.size	_ZN9rocsparseL31gebsrmm_general_blockdim_kernelILi32ELi32EfEEv20rocsparse_direction_20rocsparse_operation_iiNS_24const_host_device_scalarIT1_EEPKiS7_PKS4_iiS9_lS5_PS4_l21rocsparse_index_base_b, .Lfunc_end0-_ZN9rocsparseL31gebsrmm_general_blockdim_kernelILi32ELi32EfEEv20rocsparse_direction_20rocsparse_operation_iiNS_24const_host_device_scalarIT1_EEPKiS7_PKS4_iiS9_lS5_PS4_l21rocsparse_index_base_b
                                        ; -- End function
	.section	.AMDGPU.csdata,"",@progbits
; Kernel info:
; codeLenInByte = 1936
; NumSgprs: 34
; NumVgprs: 34
; ScratchSize: 0
; MemoryBound: 0
; FloatMode: 240
; IeeeMode: 1
; LDSByteSize: 8192 bytes/workgroup (compile time only)
; SGPRBlocks: 4
; VGPRBlocks: 4
; NumSGPRsForWavesPerEU: 34
; NumVGPRsForWavesPerEU: 34
; Occupancy: 16
; WaveLimiterHint : 0
; COMPUTE_PGM_RSRC2:SCRATCH_EN: 0
; COMPUTE_PGM_RSRC2:USER_SGPR: 14
; COMPUTE_PGM_RSRC2:TRAP_HANDLER: 0
; COMPUTE_PGM_RSRC2:TGID_X_EN: 1
; COMPUTE_PGM_RSRC2:TGID_Y_EN: 1
; COMPUTE_PGM_RSRC2:TGID_Z_EN: 0
; COMPUTE_PGM_RSRC2:TIDIG_COMP_CNT: 1
	.section	.text._ZN9rocsparseL31gebsrmm_general_blockdim_kernelILi32ELi32EdEEv20rocsparse_direction_20rocsparse_operation_iiNS_24const_host_device_scalarIT1_EEPKiS7_PKS4_iiS9_lS5_PS4_l21rocsparse_index_base_b,"axG",@progbits,_ZN9rocsparseL31gebsrmm_general_blockdim_kernelILi32ELi32EdEEv20rocsparse_direction_20rocsparse_operation_iiNS_24const_host_device_scalarIT1_EEPKiS7_PKS4_iiS9_lS5_PS4_l21rocsparse_index_base_b,comdat
	.globl	_ZN9rocsparseL31gebsrmm_general_blockdim_kernelILi32ELi32EdEEv20rocsparse_direction_20rocsparse_operation_iiNS_24const_host_device_scalarIT1_EEPKiS7_PKS4_iiS9_lS5_PS4_l21rocsparse_index_base_b ; -- Begin function _ZN9rocsparseL31gebsrmm_general_blockdim_kernelILi32ELi32EdEEv20rocsparse_direction_20rocsparse_operation_iiNS_24const_host_device_scalarIT1_EEPKiS7_PKS4_iiS9_lS5_PS4_l21rocsparse_index_base_b
	.p2align	8
	.type	_ZN9rocsparseL31gebsrmm_general_blockdim_kernelILi32ELi32EdEEv20rocsparse_direction_20rocsparse_operation_iiNS_24const_host_device_scalarIT1_EEPKiS7_PKS4_iiS9_lS5_PS4_l21rocsparse_index_base_b,@function
_ZN9rocsparseL31gebsrmm_general_blockdim_kernelILi32ELi32EdEEv20rocsparse_direction_20rocsparse_operation_iiNS_24const_host_device_scalarIT1_EEPKiS7_PKS4_iiS9_lS5_PS4_l21rocsparse_index_base_b: ; @_ZN9rocsparseL31gebsrmm_general_blockdim_kernelILi32ELi32EdEEv20rocsparse_direction_20rocsparse_operation_iiNS_24const_host_device_scalarIT1_EEPKiS7_PKS4_iiS9_lS5_PS4_l21rocsparse_index_base_b
; %bb.0:
	s_clause 0x2
	s_load_b64 s[12:13], s[0:1], 0x60
	s_load_b64 s[2:3], s[0:1], 0x10
	s_load_b128 s[4:7], s[0:1], 0x40
	s_waitcnt lgkmcnt(0)
	s_bitcmp1_b32 s13, 0
	v_dual_mov_b32 v1, s2 :: v_dual_mov_b32 v2, s3
	s_cselect_b32 s8, -1, 0
	s_delay_alu instid0(SALU_CYCLE_1)
	s_and_b32 vcc_lo, exec_lo, s8
	s_xor_b32 s8, s8, -1
	s_cbranch_vccnz .LBB1_2
; %bb.1:
	v_dual_mov_b32 v1, s2 :: v_dual_mov_b32 v2, s3
	flat_load_b64 v[1:2], v[1:2]
.LBB1_2:
	v_dual_mov_b32 v3, s6 :: v_dual_mov_b32 v4, s7
	s_and_not1_b32 vcc_lo, exec_lo, s8
	s_cbranch_vccnz .LBB1_4
; %bb.3:
	v_dual_mov_b32 v3, s6 :: v_dual_mov_b32 v4, s7
	flat_load_b64 v[3:4], v[3:4]
.LBB1_4:
	s_waitcnt vmcnt(0) lgkmcnt(0)
	v_cmp_neq_f64_e32 vcc_lo, 0, v[1:2]
	v_cmp_neq_f64_e64 s2, 1.0, v[3:4]
	s_delay_alu instid0(VALU_DEP_1) | instskip(NEXT) | instid1(SALU_CYCLE_1)
	s_or_b32 s2, vcc_lo, s2
	s_and_saveexec_b32 s3, s2
	s_cbranch_execz .LBB1_49
; %bb.5:
	s_load_b128 s[16:19], s[0:1], 0x0
	s_mov_b32 s3, 0
	s_mov_b32 s13, 0
	s_waitcnt lgkmcnt(0)
	s_cmp_lt_i32 s14, s18
	s_cselect_b32 s2, -1, 0
	s_cmp_ge_i32 s14, s18
	s_cbranch_scc1 .LBB1_7
; %bb.6:
	s_load_b64 s[6:7], s[0:1], 0x18
	s_mov_b32 s3, s15
	s_ashr_i32 s15, s14, 31
	s_delay_alu instid0(SALU_CYCLE_1)
	s_lshl_b64 s[8:9], s[14:15], 2
	s_mov_b32 s15, s3
	s_waitcnt lgkmcnt(0)
	s_add_u32 s6, s6, s8
	s_addc_u32 s7, s7, s9
	s_load_b64 s[6:7], s[6:7], 0x0
	s_waitcnt lgkmcnt(0)
	s_sub_i32 s13, s6, s12
	s_sub_i32 s3, s7, s12
.LBB1_7:
	s_load_b64 s[6:7], s[0:1], 0x30
	s_waitcnt lgkmcnt(0)
	s_cmp_lt_i32 s6, 1
	s_cbranch_scc1 .LBB1_49
; %bb.8:
	s_load_b128 s[20:23], s[0:1], 0x50
	v_bfe_u32 v5, v0, 10, 10
	s_clause 0x1
	s_load_b128 s[8:11], s[0:1], 0x20
	s_load_b64 s[26:27], s[0:1], 0x38
	v_cmp_neq_f64_e64 s0, 0, v[3:4]
	v_and_b32_e32 v0, 0x3ff, v0
	s_cmp_lt_i32 s13, s3
	v_lshl_add_u32 v6, s15, 5, v5
	v_lshlrev_b32_e32 v19, 5, v5
	s_cselect_b32 s24, -1, 0
	s_cmp_gt_i32 s7, 0
	v_lshlrev_b32_e32 v24, 3, v0
	v_ashrrev_i32_e32 v7, 31, v6
	v_mul_lo_u32 v14, v6, s5
	v_mad_u64_u32 v[8:9], null, v6, s4, 0
	v_cmp_gt_i32_e64 s1, s19, v6
	s_delay_alu instid0(VALU_DEP_4)
	v_mul_lo_u32 v15, v7, s4
	v_lshlrev_b64 v[10:11], 3, v[6:7]
	v_lshl_add_u32 v25, v5, 8, 0x2000
	s_mul_i32 s18, s14, s6
	s_waitcnt lgkmcnt(0)
	v_mul_lo_u32 v7, v7, s22
	v_mul_lo_u32 v18, v6, s23
	v_mad_u64_u32 v[12:13], null, v6, s22, 0
	v_add3_u32 v9, v9, v14, v15
	v_add_co_u32 v16, vcc_lo, s26, v10
	v_add_co_ci_u32_e32 v17, vcc_lo, s27, v11, vcc_lo
	s_cselect_b32 s22, -1, 0
	s_delay_alu instid0(VALU_DEP_4)
	v_add3_u32 v13, v13, v18, v7
	v_lshlrev_b64 v[7:8], 3, v[8:9]
	v_add_lshl_u32 v18, v19, v0, 3
	s_cmpk_lg_i32 s17, 0x6f
	s_mov_b32 s23, 0
	s_cselect_b32 s25, -1, 0
	s_cmp_lg_u32 s16, 0
	v_add_co_u32 v20, vcc_lo, s26, v7
	v_add_co_ci_u32_e32 v21, vcc_lo, s27, v8, vcc_lo
	v_lshlrev_b64 v[6:7], 3, v[12:13]
	v_mad_u64_u32 v[8:9], null, s13, s6, v[0:1]
	v_add_nc_u32_e32 v19, 0x2000, v18
	s_cselect_b32 s19, -1, 0
	s_mul_i32 s26, s7, s6
	s_delay_alu instid0(VALU_DEP_3) | instskip(SKIP_1) | instid1(VALU_DEP_4)
	v_add_co_u32 v22, vcc_lo, s20, v6
	v_add_co_ci_u32_e32 v23, vcc_lo, s21, v7, vcc_lo
	v_mad_u64_u32 v[6:7], null, s7, v8, v[5:6]
	s_and_b32 s20, s2, s1
	s_lshl_b32 s21, s7, 5
	s_branch .LBB1_10
.LBB1_9:                                ;   in Loop: Header=BB1_10 Depth=1
	s_or_b32 exec_lo, exec_lo, s2
	v_add_nc_u32_e32 v6, s21, v6
	s_add_i32 s23, s23, 32
	s_delay_alu instid0(SALU_CYCLE_1)
	s_cmp_lt_i32 s23, s6
	s_cbranch_scc0 .LBB1_49
.LBB1_10:                               ; =>This Loop Header: Depth=1
                                        ;     Child Loop BB1_13 Depth 2
                                        ;       Child Loop BB1_16 Depth 3
	v_dual_mov_b32 v10, 0 :: v_dual_add_nc_u32 v7, s23, v0
	v_mov_b32_e32 v11, 0
	s_and_not1_b32 vcc_lo, exec_lo, s24
	s_delay_alu instid0(VALU_DEP_2)
	v_cmp_gt_i32_e64 s2, s6, v7
	s_cbranch_vccnz .LBB1_44
; %bb.11:                               ;   in Loop: Header=BB1_10 Depth=1
	v_mov_b32_e32 v10, 0
	v_dual_mov_b32 v11, 0 :: v_dual_mov_b32 v26, v6
	s_mov_b32 s14, s13
	s_branch .LBB1_13
.LBB1_12:                               ;   in Loop: Header=BB1_13 Depth=2
	v_add_nc_u32_e32 v26, s26, v26
	s_add_i32 s14, s14, 1
	s_delay_alu instid0(SALU_CYCLE_1)
	s_cmp_ge_i32 s14, s3
	s_cbranch_scc1 .LBB1_44
.LBB1_13:                               ;   Parent Loop BB1_10 Depth=1
                                        ; =>  This Loop Header: Depth=2
                                        ;       Child Loop BB1_16 Depth 3
	s_and_not1_b32 vcc_lo, exec_lo, s22
	s_cbranch_vccnz .LBB1_12
; %bb.14:                               ;   in Loop: Header=BB1_13 Depth=2
	s_ashr_i32 s15, s14, 31
	s_mov_b32 s27, 0
	s_lshl_b64 s[16:17], s[14:15], 2
	s_delay_alu instid0(SALU_CYCLE_1) | instskip(SKIP_4) | instid1(SALU_CYCLE_1)
	s_add_u32 s16, s8, s16
	s_addc_u32 s17, s9, s17
	s_load_b32 s15, s[16:17], 0x0
	s_waitcnt lgkmcnt(0)
	s_sub_i32 s15, s15, s12
	v_mad_u64_u32 v[8:9], null, s15, s7, v[0:1]
	s_mul_i32 s15, s14, s7
	s_branch .LBB1_16
.LBB1_15:                               ;   in Loop: Header=BB1_16 Depth=3
	s_or_b32 exec_lo, exec_lo, s16
	s_waitcnt vmcnt(0)
	ds_store_b64 v18, v[13:14]
	s_waitcnt lgkmcnt(0)
	s_waitcnt_vscnt null, 0x0
	s_barrier
	buffer_gl0_inv
	ds_load_2addr_b64 v[12:15], v24 offset1:32
	ds_load_b128 v[27:30], v25
	ds_load_b128 v[31:34], v25 offset:16
	s_add_i32 s27, s27, 32
	s_delay_alu instid0(SALU_CYCLE_1) | instskip(SKIP_2) | instid1(VALU_DEP_1)
	s_cmp_ge_i32 s27, s7
	s_waitcnt lgkmcnt(1)
	v_fma_f64 v[9:10], v[12:13], v[27:28], v[10:11]
	v_fma_f64 v[13:14], v[14:15], v[29:30], v[9:10]
	ds_load_2addr_b64 v[9:12], v24 offset0:64 offset1:96
	v_add_nc_u32_e32 v15, 0x800, v24
	s_waitcnt lgkmcnt(0)
	v_fma_f64 v[9:10], v[9:10], v[31:32], v[13:14]
	s_delay_alu instid0(VALU_DEP_1)
	v_fma_f64 v[13:14], v[11:12], v[33:34], v[9:10]
	ds_load_2addr_b64 v[9:12], v24 offset0:128 offset1:160
	ds_load_b128 v[27:30], v25 offset:32
	ds_load_b128 v[31:34], v25 offset:48
	s_waitcnt lgkmcnt(1)
	v_fma_f64 v[9:10], v[9:10], v[27:28], v[13:14]
	s_delay_alu instid0(VALU_DEP_1) | instskip(SKIP_3) | instid1(VALU_DEP_1)
	v_fma_f64 v[13:14], v[11:12], v[29:30], v[9:10]
	ds_load_2addr_b64 v[9:12], v24 offset0:192 offset1:224
	s_waitcnt lgkmcnt(0)
	v_fma_f64 v[9:10], v[9:10], v[31:32], v[13:14]
	v_fma_f64 v[13:14], v[11:12], v[33:34], v[9:10]
	ds_load_2addr_b64 v[9:12], v15 offset1:32
	ds_load_b128 v[27:30], v25 offset:64
	ds_load_b128 v[31:34], v25 offset:80
	s_waitcnt lgkmcnt(1)
	v_fma_f64 v[9:10], v[9:10], v[27:28], v[13:14]
	s_delay_alu instid0(VALU_DEP_1) | instskip(SKIP_3) | instid1(VALU_DEP_1)
	v_fma_f64 v[13:14], v[11:12], v[29:30], v[9:10]
	ds_load_2addr_b64 v[9:12], v15 offset0:64 offset1:96
	s_waitcnt lgkmcnt(0)
	v_fma_f64 v[9:10], v[9:10], v[31:32], v[13:14]
	v_fma_f64 v[13:14], v[11:12], v[33:34], v[9:10]
	ds_load_2addr_b64 v[9:12], v15 offset0:128 offset1:160
	ds_load_b128 v[27:30], v25 offset:96
	ds_load_b128 v[31:34], v25 offset:112
	s_waitcnt lgkmcnt(1)
	v_fma_f64 v[9:10], v[9:10], v[27:28], v[13:14]
	s_delay_alu instid0(VALU_DEP_1) | instskip(SKIP_4) | instid1(VALU_DEP_1)
	v_fma_f64 v[13:14], v[11:12], v[29:30], v[9:10]
	ds_load_2addr_b64 v[9:12], v15 offset0:192 offset1:224
	v_add_nc_u32_e32 v15, 0x1000, v24
	s_waitcnt lgkmcnt(0)
	v_fma_f64 v[9:10], v[9:10], v[31:32], v[13:14]
	v_fma_f64 v[13:14], v[11:12], v[33:34], v[9:10]
	ds_load_2addr_b64 v[9:12], v15 offset1:32
	ds_load_b128 v[27:30], v25 offset:128
	ds_load_b128 v[31:34], v25 offset:144
	s_waitcnt lgkmcnt(1)
	v_fma_f64 v[9:10], v[9:10], v[27:28], v[13:14]
	s_delay_alu instid0(VALU_DEP_1) | instskip(SKIP_3) | instid1(VALU_DEP_1)
	v_fma_f64 v[13:14], v[11:12], v[29:30], v[9:10]
	ds_load_2addr_b64 v[9:12], v15 offset0:64 offset1:96
	s_waitcnt lgkmcnt(0)
	v_fma_f64 v[9:10], v[9:10], v[31:32], v[13:14]
	v_fma_f64 v[13:14], v[11:12], v[33:34], v[9:10]
	ds_load_2addr_b64 v[9:12], v15 offset0:128 offset1:160
	ds_load_b128 v[27:30], v25 offset:160
	ds_load_b128 v[31:34], v25 offset:176
	s_waitcnt lgkmcnt(1)
	v_fma_f64 v[9:10], v[9:10], v[27:28], v[13:14]
	s_delay_alu instid0(VALU_DEP_1) | instskip(SKIP_4) | instid1(VALU_DEP_1)
	v_fma_f64 v[13:14], v[11:12], v[29:30], v[9:10]
	ds_load_2addr_b64 v[9:12], v15 offset0:192 offset1:224
	v_add_nc_u32_e32 v15, 0x1800, v24
	s_waitcnt lgkmcnt(0)
	v_fma_f64 v[9:10], v[9:10], v[31:32], v[13:14]
	v_fma_f64 v[13:14], v[11:12], v[33:34], v[9:10]
	ds_load_2addr_b64 v[9:12], v15 offset1:32
	ds_load_b128 v[27:30], v25 offset:192
	ds_load_b128 v[31:34], v25 offset:208
	s_waitcnt lgkmcnt(1)
	v_fma_f64 v[9:10], v[9:10], v[27:28], v[13:14]
	s_delay_alu instid0(VALU_DEP_1) | instskip(SKIP_3) | instid1(VALU_DEP_1)
	v_fma_f64 v[13:14], v[11:12], v[29:30], v[9:10]
	ds_load_2addr_b64 v[9:12], v15 offset0:64 offset1:96
	s_waitcnt lgkmcnt(0)
	v_fma_f64 v[9:10], v[9:10], v[31:32], v[13:14]
	v_fma_f64 v[13:14], v[11:12], v[33:34], v[9:10]
	ds_load_2addr_b64 v[9:12], v15 offset0:128 offset1:160
	ds_load_b128 v[27:30], v25 offset:224
	ds_load_b128 v[31:34], v25 offset:240
	s_waitcnt lgkmcnt(1)
	v_fma_f64 v[9:10], v[9:10], v[27:28], v[13:14]
	s_delay_alu instid0(VALU_DEP_1)
	v_fma_f64 v[13:14], v[11:12], v[29:30], v[9:10]
	ds_load_2addr_b64 v[9:12], v15 offset0:192 offset1:224
	s_waitcnt lgkmcnt(0)
	s_barrier
	buffer_gl0_inv
	v_fma_f64 v[9:10], v[9:10], v[31:32], v[13:14]
	s_delay_alu instid0(VALU_DEP_1)
	v_fma_f64 v[10:11], v[11:12], v[33:34], v[9:10]
	s_cbranch_scc1 .LBB1_12
.LBB1_16:                               ;   Parent Loop BB1_10 Depth=1
                                        ;     Parent Loop BB1_13 Depth=2
                                        ; =>    This Inner Loop Header: Depth=3
	s_and_b32 vcc_lo, exec_lo, s25
	s_cbranch_vccz .LBB1_22
; %bb.17:                               ;   in Loop: Header=BB1_16 Depth=3
	s_mov_b32 s29, 0
	s_mov_b32 s28, 0
                                        ; implicit-def: $vgpr12_vgpr13
	s_and_saveexec_b32 s16, s1
	s_cbranch_execz .LBB1_21
; %bb.18:                               ;   in Loop: Header=BB1_16 Depth=3
	v_add_nc_u32_e32 v9, s27, v0
	s_mov_b32 s17, 0
	s_mov_b32 s28, exec_lo
                                        ; implicit-def: $vgpr12_vgpr13
	s_delay_alu instid0(VALU_DEP_1)
	v_cmpx_gt_i32_e64 s7, v9
	s_xor_b32 s28, exec_lo, s28
; %bb.19:                               ;   in Loop: Header=BB1_16 Depth=3
	v_add_nc_u32_e32 v9, s27, v8
	s_mov_b32 s17, exec_lo
	s_delay_alu instid0(VALU_DEP_1) | instskip(SKIP_2) | instid1(VALU_DEP_3)
	v_ashrrev_i32_e32 v14, 31, v9
	v_mul_lo_u32 v15, v9, s5
	v_mad_u64_u32 v[12:13], null, v9, s4, 0
	v_mul_lo_u32 v9, v14, s4
	s_delay_alu instid0(VALU_DEP_1) | instskip(NEXT) | instid1(VALU_DEP_1)
	v_add3_u32 v13, v13, v15, v9
	v_lshlrev_b64 v[12:13], 3, v[12:13]
	s_delay_alu instid0(VALU_DEP_1) | instskip(NEXT) | instid1(VALU_DEP_2)
	v_add_co_u32 v12, vcc_lo, v16, v12
	v_add_co_ci_u32_e32 v13, vcc_lo, v17, v13, vcc_lo
; %bb.20:                               ;   in Loop: Header=BB1_16 Depth=3
	s_or_b32 exec_lo, exec_lo, s28
	s_delay_alu instid0(SALU_CYCLE_1)
	s_and_b32 s28, s17, exec_lo
.LBB1_21:                               ;   in Loop: Header=BB1_16 Depth=3
	s_or_b32 exec_lo, exec_lo, s16
	s_mov_b64 s[16:17], 0
	s_and_b32 vcc_lo, exec_lo, s29
	s_cbranch_vccnz .LBB1_23
	s_branch .LBB1_28
.LBB1_22:                               ;   in Loop: Header=BB1_16 Depth=3
	s_mov_b32 s28, 0
                                        ; implicit-def: $vgpr12_vgpr13
                                        ; implicit-def: $sgpr16_sgpr17
	s_cbranch_execz .LBB1_28
.LBB1_23:                               ;   in Loop: Header=BB1_16 Depth=3
                                        ; implicit-def: $vgpr12_vgpr13
	s_and_saveexec_b32 s16, s1
	s_cbranch_execz .LBB1_27
; %bb.24:                               ;   in Loop: Header=BB1_16 Depth=3
	v_add_nc_u32_e32 v9, s27, v0
	s_mov_b32 s29, s28
	s_mov_b32 s17, exec_lo
                                        ; implicit-def: $vgpr12_vgpr13
	s_delay_alu instid0(VALU_DEP_1)
	v_cmpx_gt_i32_e64 s7, v9
; %bb.25:                               ;   in Loop: Header=BB1_16 Depth=3
	v_add_nc_u32_e32 v12, s27, v8
	s_or_b32 s29, s28, exec_lo
	s_delay_alu instid0(VALU_DEP_1) | instskip(NEXT) | instid1(VALU_DEP_1)
	v_ashrrev_i32_e32 v13, 31, v12
	v_lshlrev_b64 v[12:13], 3, v[12:13]
	s_delay_alu instid0(VALU_DEP_1) | instskip(NEXT) | instid1(VALU_DEP_2)
	v_add_co_u32 v12, vcc_lo, v20, v12
	v_add_co_ci_u32_e32 v13, vcc_lo, v21, v13, vcc_lo
; %bb.26:                               ;   in Loop: Header=BB1_16 Depth=3
	s_or_b32 exec_lo, exec_lo, s17
	s_delay_alu instid0(SALU_CYCLE_1) | instskip(SKIP_1) | instid1(SALU_CYCLE_1)
	s_and_not1_b32 s17, s28, exec_lo
	s_and_b32 s28, s29, exec_lo
	s_or_b32 s28, s17, s28
.LBB1_27:                               ;   in Loop: Header=BB1_16 Depth=3
	s_or_b32 exec_lo, exec_lo, s16
	s_mov_b64 s[16:17], 0
.LBB1_28:                               ;   in Loop: Header=BB1_16 Depth=3
	s_delay_alu instid0(SALU_CYCLE_1)
	v_dual_mov_b32 v14, s16 :: v_dual_mov_b32 v15, s17
	s_and_saveexec_b32 s16, s28
	s_cbranch_execnz .LBB1_36
; %bb.29:                               ;   in Loop: Header=BB1_16 Depth=3
	s_or_b32 exec_lo, exec_lo, s16
	s_delay_alu instid0(SALU_CYCLE_1)
	s_and_b32 vcc_lo, exec_lo, s19
	ds_store_b64 v19, v[14:15]
	s_cbranch_vccz .LBB1_37
.LBB1_30:                               ;   in Loop: Header=BB1_16 Depth=3
	s_mov_b32 s29, 0
	s_mov_b32 s28, 0
                                        ; implicit-def: $vgpr12
	s_and_saveexec_b32 s16, s2
	s_cbranch_execz .LBB1_34
; %bb.31:                               ;   in Loop: Header=BB1_16 Depth=3
	v_add_nc_u32_e32 v9, s27, v5
	s_mov_b32 s17, 0
	s_mov_b32 s28, exec_lo
                                        ; implicit-def: $vgpr12
	s_delay_alu instid0(VALU_DEP_1)
	v_cmpx_gt_i32_e64 s7, v9
	s_xor_b32 s28, exec_lo, s28
; %bb.32:                               ;   in Loop: Header=BB1_16 Depth=3
	v_add_nc_u32_e32 v9, s15, v9
	s_mov_b32 s17, exec_lo
	s_delay_alu instid0(VALU_DEP_1)
	v_mad_u64_u32 v[12:13], null, v9, s6, v[7:8]
; %bb.33:                               ;   in Loop: Header=BB1_16 Depth=3
	s_or_b32 exec_lo, exec_lo, s28
	s_delay_alu instid0(SALU_CYCLE_1)
	s_and_b32 s28, s17, exec_lo
.LBB1_34:                               ;   in Loop: Header=BB1_16 Depth=3
	s_or_b32 exec_lo, exec_lo, s16
	s_mov_b64 s[16:17], 0
	s_and_b32 vcc_lo, exec_lo, s29
	s_cbranch_vccnz .LBB1_38
.LBB1_35:                               ;   in Loop: Header=BB1_16 Depth=3
	v_dual_mov_b32 v13, s16 :: v_dual_mov_b32 v14, s17
	s_and_saveexec_b32 s16, s28
	s_cbranch_execz .LBB1_15
	s_branch .LBB1_43
.LBB1_36:                               ;   in Loop: Header=BB1_16 Depth=3
	global_load_b64 v[14:15], v[12:13], off
	s_or_b32 exec_lo, exec_lo, s16
	s_delay_alu instid0(SALU_CYCLE_1)
	s_and_b32 vcc_lo, exec_lo, s19
	s_waitcnt vmcnt(0)
	ds_store_b64 v19, v[14:15]
	s_cbranch_vccnz .LBB1_30
.LBB1_37:                               ;   in Loop: Header=BB1_16 Depth=3
	s_mov_b32 s28, 0
                                        ; implicit-def: $vgpr12
                                        ; implicit-def: $sgpr16_sgpr17
	s_cbranch_execz .LBB1_35
.LBB1_38:                               ;   in Loop: Header=BB1_16 Depth=3
                                        ; implicit-def: $vgpr12
	s_and_saveexec_b32 s16, s2
	s_cbranch_execz .LBB1_42
; %bb.39:                               ;   in Loop: Header=BB1_16 Depth=3
	v_add_nc_u32_e32 v9, s27, v5
	s_mov_b32 s17, s28
	s_mov_b32 s29, exec_lo
                                        ; implicit-def: $vgpr12
	s_delay_alu instid0(VALU_DEP_1)
	v_cmpx_gt_i32_e64 s7, v9
; %bb.40:                               ;   in Loop: Header=BB1_16 Depth=3
	v_add_nc_u32_e32 v12, s27, v26
	s_or_b32 s17, s28, exec_lo
; %bb.41:                               ;   in Loop: Header=BB1_16 Depth=3
	s_or_b32 exec_lo, exec_lo, s29
	s_delay_alu instid0(SALU_CYCLE_1) | instskip(SKIP_1) | instid1(SALU_CYCLE_1)
	s_and_not1_b32 s28, s28, exec_lo
	s_and_b32 s17, s17, exec_lo
	s_or_b32 s28, s28, s17
.LBB1_42:                               ;   in Loop: Header=BB1_16 Depth=3
	s_or_b32 exec_lo, exec_lo, s16
	s_mov_b64 s[16:17], 0
	s_delay_alu instid0(SALU_CYCLE_1)
	v_dual_mov_b32 v13, s16 :: v_dual_mov_b32 v14, s17
	s_and_saveexec_b32 s16, s28
	s_cbranch_execz .LBB1_15
.LBB1_43:                               ;   in Loop: Header=BB1_16 Depth=3
	v_ashrrev_i32_e32 v13, 31, v12
	s_delay_alu instid0(VALU_DEP_1) | instskip(NEXT) | instid1(VALU_DEP_1)
	v_lshlrev_b64 v[12:13], 3, v[12:13]
	v_add_co_u32 v12, vcc_lo, s10, v12
	s_delay_alu instid0(VALU_DEP_2)
	v_add_co_ci_u32_e32 v13, vcc_lo, s11, v13, vcc_lo
	global_load_b64 v[13:14], v[12:13], off
	s_branch .LBB1_15
.LBB1_44:                               ;   in Loop: Header=BB1_10 Depth=1
	v_cmp_gt_i32_e32 vcc_lo, s6, v7
	s_and_b32 s14, s20, vcc_lo
	s_delay_alu instid0(SALU_CYCLE_1)
	s_and_saveexec_b32 s2, s14
	s_cbranch_execz .LBB1_9
; %bb.45:                               ;   in Loop: Header=BB1_10 Depth=1
	v_add_nc_u32_e32 v7, s18, v7
	s_and_saveexec_b32 s14, s0
	s_delay_alu instid0(SALU_CYCLE_1)
	s_xor_b32 s14, exec_lo, s14
	s_cbranch_execz .LBB1_47
; %bb.46:                               ;   in Loop: Header=BB1_10 Depth=1
	s_delay_alu instid0(VALU_DEP_1) | instskip(SKIP_1) | instid1(VALU_DEP_2)
	v_ashrrev_i32_e32 v8, 31, v7
	v_mul_f64 v[9:10], v[1:2], v[10:11]
	v_lshlrev_b64 v[7:8], 3, v[7:8]
	s_delay_alu instid0(VALU_DEP_1) | instskip(NEXT) | instid1(VALU_DEP_2)
	v_add_co_u32 v7, vcc_lo, v22, v7
	v_add_co_ci_u32_e32 v8, vcc_lo, v23, v8, vcc_lo
	global_load_b64 v[12:13], v[7:8], off
	s_waitcnt vmcnt(0)
	v_fma_f64 v[9:10], v[3:4], v[12:13], v[9:10]
	global_store_b64 v[7:8], v[9:10], off
                                        ; implicit-def: $vgpr10_vgpr11
                                        ; implicit-def: $vgpr7
.LBB1_47:                               ;   in Loop: Header=BB1_10 Depth=1
	s_and_not1_saveexec_b32 s14, s14
	s_cbranch_execz .LBB1_9
; %bb.48:                               ;   in Loop: Header=BB1_10 Depth=1
	s_delay_alu instid0(VALU_DEP_4) | instskip(SKIP_1) | instid1(VALU_DEP_1)
	v_mul_f64 v[9:10], v[1:2], v[10:11]
	v_ashrrev_i32_e32 v8, 31, v7
	v_lshlrev_b64 v[7:8], 3, v[7:8]
	s_delay_alu instid0(VALU_DEP_1) | instskip(NEXT) | instid1(VALU_DEP_2)
	v_add_co_u32 v7, vcc_lo, v22, v7
	v_add_co_ci_u32_e32 v8, vcc_lo, v23, v8, vcc_lo
	global_store_b64 v[7:8], v[9:10], off
	s_branch .LBB1_9
.LBB1_49:
	s_nop 0
	s_sendmsg sendmsg(MSG_DEALLOC_VGPRS)
	s_endpgm
	.section	.rodata,"a",@progbits
	.p2align	6, 0x0
	.amdhsa_kernel _ZN9rocsparseL31gebsrmm_general_blockdim_kernelILi32ELi32EdEEv20rocsparse_direction_20rocsparse_operation_iiNS_24const_host_device_scalarIT1_EEPKiS7_PKS4_iiS9_lS5_PS4_l21rocsparse_index_base_b
		.amdhsa_group_segment_fixed_size 16384
		.amdhsa_private_segment_fixed_size 0
		.amdhsa_kernarg_size 104
		.amdhsa_user_sgpr_count 14
		.amdhsa_user_sgpr_dispatch_ptr 0
		.amdhsa_user_sgpr_queue_ptr 0
		.amdhsa_user_sgpr_kernarg_segment_ptr 1
		.amdhsa_user_sgpr_dispatch_id 0
		.amdhsa_user_sgpr_private_segment_size 0
		.amdhsa_wavefront_size32 1
		.amdhsa_uses_dynamic_stack 0
		.amdhsa_enable_private_segment 0
		.amdhsa_system_sgpr_workgroup_id_x 1
		.amdhsa_system_sgpr_workgroup_id_y 1
		.amdhsa_system_sgpr_workgroup_id_z 0
		.amdhsa_system_sgpr_workgroup_info 0
		.amdhsa_system_vgpr_workitem_id 1
		.amdhsa_next_free_vgpr 35
		.amdhsa_next_free_sgpr 30
		.amdhsa_reserve_vcc 1
		.amdhsa_float_round_mode_32 0
		.amdhsa_float_round_mode_16_64 0
		.amdhsa_float_denorm_mode_32 3
		.amdhsa_float_denorm_mode_16_64 3
		.amdhsa_dx10_clamp 1
		.amdhsa_ieee_mode 1
		.amdhsa_fp16_overflow 0
		.amdhsa_workgroup_processor_mode 1
		.amdhsa_memory_ordered 1
		.amdhsa_forward_progress 0
		.amdhsa_shared_vgpr_count 0
		.amdhsa_exception_fp_ieee_invalid_op 0
		.amdhsa_exception_fp_denorm_src 0
		.amdhsa_exception_fp_ieee_div_zero 0
		.amdhsa_exception_fp_ieee_overflow 0
		.amdhsa_exception_fp_ieee_underflow 0
		.amdhsa_exception_fp_ieee_inexact 0
		.amdhsa_exception_int_div_zero 0
	.end_amdhsa_kernel
	.section	.text._ZN9rocsparseL31gebsrmm_general_blockdim_kernelILi32ELi32EdEEv20rocsparse_direction_20rocsparse_operation_iiNS_24const_host_device_scalarIT1_EEPKiS7_PKS4_iiS9_lS5_PS4_l21rocsparse_index_base_b,"axG",@progbits,_ZN9rocsparseL31gebsrmm_general_blockdim_kernelILi32ELi32EdEEv20rocsparse_direction_20rocsparse_operation_iiNS_24const_host_device_scalarIT1_EEPKiS7_PKS4_iiS9_lS5_PS4_l21rocsparse_index_base_b,comdat
.Lfunc_end1:
	.size	_ZN9rocsparseL31gebsrmm_general_blockdim_kernelILi32ELi32EdEEv20rocsparse_direction_20rocsparse_operation_iiNS_24const_host_device_scalarIT1_EEPKiS7_PKS4_iiS9_lS5_PS4_l21rocsparse_index_base_b, .Lfunc_end1-_ZN9rocsparseL31gebsrmm_general_blockdim_kernelILi32ELi32EdEEv20rocsparse_direction_20rocsparse_operation_iiNS_24const_host_device_scalarIT1_EEPKiS7_PKS4_iiS9_lS5_PS4_l21rocsparse_index_base_b
                                        ; -- End function
	.section	.AMDGPU.csdata,"",@progbits
; Kernel info:
; codeLenInByte = 2220
; NumSgprs: 32
; NumVgprs: 35
; ScratchSize: 0
; MemoryBound: 0
; FloatMode: 240
; IeeeMode: 1
; LDSByteSize: 16384 bytes/workgroup (compile time only)
; SGPRBlocks: 3
; VGPRBlocks: 4
; NumSGPRsForWavesPerEU: 32
; NumVGPRsForWavesPerEU: 35
; Occupancy: 16
; WaveLimiterHint : 1
; COMPUTE_PGM_RSRC2:SCRATCH_EN: 0
; COMPUTE_PGM_RSRC2:USER_SGPR: 14
; COMPUTE_PGM_RSRC2:TRAP_HANDLER: 0
; COMPUTE_PGM_RSRC2:TGID_X_EN: 1
; COMPUTE_PGM_RSRC2:TGID_Y_EN: 1
; COMPUTE_PGM_RSRC2:TGID_Z_EN: 0
; COMPUTE_PGM_RSRC2:TIDIG_COMP_CNT: 1
	.section	.text._ZN9rocsparseL31gebsrmm_general_blockdim_kernelILi32ELi32E21rocsparse_complex_numIfEEEv20rocsparse_direction_20rocsparse_operation_iiNS_24const_host_device_scalarIT1_EEPKiS9_PKS6_iiSB_lS7_PS6_l21rocsparse_index_base_b,"axG",@progbits,_ZN9rocsparseL31gebsrmm_general_blockdim_kernelILi32ELi32E21rocsparse_complex_numIfEEEv20rocsparse_direction_20rocsparse_operation_iiNS_24const_host_device_scalarIT1_EEPKiS9_PKS6_iiSB_lS7_PS6_l21rocsparse_index_base_b,comdat
	.globl	_ZN9rocsparseL31gebsrmm_general_blockdim_kernelILi32ELi32E21rocsparse_complex_numIfEEEv20rocsparse_direction_20rocsparse_operation_iiNS_24const_host_device_scalarIT1_EEPKiS9_PKS6_iiSB_lS7_PS6_l21rocsparse_index_base_b ; -- Begin function _ZN9rocsparseL31gebsrmm_general_blockdim_kernelILi32ELi32E21rocsparse_complex_numIfEEEv20rocsparse_direction_20rocsparse_operation_iiNS_24const_host_device_scalarIT1_EEPKiS9_PKS6_iiSB_lS7_PS6_l21rocsparse_index_base_b
	.p2align	8
	.type	_ZN9rocsparseL31gebsrmm_general_blockdim_kernelILi32ELi32E21rocsparse_complex_numIfEEEv20rocsparse_direction_20rocsparse_operation_iiNS_24const_host_device_scalarIT1_EEPKiS9_PKS6_iiSB_lS7_PS6_l21rocsparse_index_base_b,@function
_ZN9rocsparseL31gebsrmm_general_blockdim_kernelILi32ELi32E21rocsparse_complex_numIfEEEv20rocsparse_direction_20rocsparse_operation_iiNS_24const_host_device_scalarIT1_EEPKiS9_PKS6_iiSB_lS7_PS6_l21rocsparse_index_base_b: ; @_ZN9rocsparseL31gebsrmm_general_blockdim_kernelILi32ELi32E21rocsparse_complex_numIfEEEv20rocsparse_direction_20rocsparse_operation_iiNS_24const_host_device_scalarIT1_EEPKiS9_PKS6_iiSB_lS7_PS6_l21rocsparse_index_base_b
; %bb.0:
	s_clause 0x1
	s_load_b64 s[12:13], s[0:1], 0x60
	s_load_b64 s[2:3], s[0:1], 0x10
	s_waitcnt lgkmcnt(0)
	s_bitcmp1_b32 s13, 0
	v_mov_b32_e32 v5, s2
	s_cselect_b32 s4, -1, 0
	s_delay_alu instid0(SALU_CYCLE_1)
	s_and_b32 vcc_lo, exec_lo, s4
	s_xor_b32 s8, s4, -1
	s_cbranch_vccnz .LBB2_2
; %bb.1:
	v_dual_mov_b32 v1, s2 :: v_dual_mov_b32 v2, s3
	flat_load_b32 v5, v[1:2]
.LBB2_2:
	s_load_b128 s[4:7], s[0:1], 0x40
	v_cndmask_b32_e64 v1, 0, 1, s8
	v_mov_b32_e32 v6, s3
	s_and_not1_b32 vcc_lo, exec_lo, s8
	s_cbranch_vccz .LBB2_56
; %bb.3:
	s_delay_alu instid0(VALU_DEP_2)
	v_cmp_ne_u32_e32 vcc_lo, 1, v1
	s_waitcnt lgkmcnt(0)
	v_mov_b32_e32 v7, s6
	s_cbranch_vccz .LBB2_57
.LBB2_4:
	v_cmp_ne_u32_e32 vcc_lo, 1, v1
	v_mov_b32_e32 v8, s7
	s_cbranch_vccnz .LBB2_6
.LBB2_5:
	v_dual_mov_b32 v1, s6 :: v_dual_mov_b32 v2, s7
	flat_load_b32 v8, v[1:2] offset:4
.LBB2_6:
	s_waitcnt vmcnt(0)
	v_cmp_eq_f32_e32 vcc_lo, 0, v5
	v_cmp_eq_f32_e64 s2, 0, v6
	s_delay_alu instid0(VALU_DEP_1)
	s_and_b32 s6, vcc_lo, s2
	s_mov_b32 s2, -1
	s_and_saveexec_b32 s3, s6
	s_cbranch_execz .LBB2_8
; %bb.7:
	s_waitcnt lgkmcnt(0)
	v_cmp_neq_f32_e32 vcc_lo, 1.0, v7
	v_cmp_neq_f32_e64 s2, 0, v8
	s_delay_alu instid0(VALU_DEP_1) | instskip(NEXT) | instid1(SALU_CYCLE_1)
	s_or_b32 s2, vcc_lo, s2
	s_or_not1_b32 s2, s2, exec_lo
.LBB2_8:
	s_or_b32 exec_lo, exec_lo, s3
	s_and_saveexec_b32 s3, s2
	s_cbranch_execz .LBB2_55
; %bb.9:
	s_load_b128 s[16:19], s[0:1], 0x0
	s_mov_b32 s13, 0
	s_waitcnt lgkmcnt(0)
	s_cmp_lt_i32 s14, s18
	s_cselect_b32 s3, -1, 0
	s_cmp_ge_i32 s14, s18
	s_mov_b32 s18, 0
	s_cbranch_scc1 .LBB2_11
; %bb.10:
	s_load_b64 s[6:7], s[0:1], 0x18
	s_mov_b32 s2, s15
	s_ashr_i32 s15, s14, 31
	s_delay_alu instid0(SALU_CYCLE_1)
	s_lshl_b64 s[8:9], s[14:15], 2
	s_mov_b32 s15, s2
	s_waitcnt lgkmcnt(0)
	s_add_u32 s6, s6, s8
	s_addc_u32 s7, s7, s9
	s_load_b64 s[6:7], s[6:7], 0x0
	s_waitcnt lgkmcnt(0)
	s_sub_i32 s18, s6, s12
	s_sub_i32 s13, s7, s12
.LBB2_11:
	s_load_b64 s[6:7], s[0:1], 0x30
	s_waitcnt lgkmcnt(0)
	s_cmp_lt_i32 s6, 1
	s_cbranch_scc1 .LBB2_55
; %bb.12:
	s_load_b128 s[20:23], s[0:1], 0x50
	v_bfe_u32 v9, v0, 10, 10
	v_and_b32_e32 v10, 0x3ff, v0
	s_clause 0x1
	s_load_b128 s[8:11], s[0:1], 0x20
	s_load_b64 s[26:27], s[0:1], 0x38
	s_cmp_lt_i32 s18, s13
	v_cmp_neq_f32_e64 s1, 0, v8
	v_lshl_add_u32 v0, s15, 5, v9
	v_lshlrev_b32_e32 v17, 5, v9
	s_cselect_b32 s24, -1, 0
	s_cmp_gt_i32 s7, 0
	v_lshlrev_b32_e32 v19, 3, v10
	v_ashrrev_i32_e32 v1, 31, v0
	v_mul_lo_u32 v4, v0, s5
	v_mad_u64_u32 v[2:3], null, v0, s4, 0
	v_cmp_gt_i32_e64 s0, s19, v0
	s_delay_alu instid0(VALU_DEP_4)
	v_mul_lo_u32 v13, v1, s4
	v_lshlrev_b64 v[11:12], 3, v[0:1]
	v_lshl_add_u32 v20, v9, 8, 0x2000
	s_mul_i32 s14, s14, s6
	s_waitcnt lgkmcnt(0)
	v_mul_lo_u32 v1, v1, s22
	v_mul_lo_u32 v14, v0, s23
	v_mad_u64_u32 v[15:16], null, v0, s22, 0
	v_add3_u32 v3, v3, v4, v13
	v_add_co_u32 v11, vcc_lo, s26, v11
	v_add_co_ci_u32_e32 v12, vcc_lo, s27, v12, vcc_lo
	v_add_lshl_u32 v13, v17, v10, 3
	v_add3_u32 v16, v16, v14, v1
	v_lshlrev_b64 v[1:2], 3, v[2:3]
	s_cselect_b32 s22, -1, 0
	s_cmpk_lg_i32 s17, 0x6f
	v_add_nc_u32_e32 v14, 0x2000, v13
	v_lshlrev_b64 v[3:4], 3, v[15:16]
	s_cselect_b32 s17, -1, 0
	v_add_co_u32 v15, vcc_lo, s26, v1
	v_add_co_ci_u32_e32 v16, vcc_lo, s27, v2, vcc_lo
	v_cmp_neq_f32_e32 vcc_lo, 0, v7
	s_delay_alu instid0(VALU_DEP_4) | instskip(NEXT) | instid1(VALU_DEP_1)
	v_add_co_u32 v17, s2, s20, v3
	v_add_co_ci_u32_e64 v18, s2, s21, v4, s2
	s_cmp_lg_u32 s16, 0
	s_mov_b32 s15, 0
	s_cselect_b32 s16, -1, 0
	s_and_b32 s19, s3, s0
	s_or_b32 s20, vcc_lo, s1
	s_branch .LBB2_14
.LBB2_13:                               ;   in Loop: Header=BB2_14 Depth=1
	s_or_b32 exec_lo, exec_lo, s1
	s_add_i32 s15, s15, 32
	s_delay_alu instid0(SALU_CYCLE_1)
	s_cmp_lt_i32 s15, s6
	s_cbranch_scc0 .LBB2_55
.LBB2_14:                               ; =>This Loop Header: Depth=1
                                        ;     Child Loop BB2_17 Depth 2
                                        ;       Child Loop BB2_19 Depth 3
                                        ;         Child Loop BB2_41 Depth 4
	v_dual_mov_b32 v21, 0 :: v_dual_add_nc_u32 v0, s15, v10
	v_mov_b32_e32 v22, 0
	s_and_not1_b32 vcc_lo, exec_lo, s24
	s_delay_alu instid0(VALU_DEP_2)
	v_cmp_gt_i32_e64 s1, s6, v0
	s_cbranch_vccnz .LBB2_50
; %bb.15:                               ;   in Loop: Header=BB2_14 Depth=1
	v_dual_mov_b32 v21, 0 :: v_dual_mov_b32 v22, 0
	s_mov_b32 s2, s18
	s_branch .LBB2_17
.LBB2_16:                               ;   in Loop: Header=BB2_17 Depth=2
	s_add_i32 s2, s2, 1
	s_delay_alu instid0(SALU_CYCLE_1)
	s_cmp_ge_i32 s2, s13
	s_cbranch_scc1 .LBB2_50
.LBB2_17:                               ;   Parent Loop BB2_14 Depth=1
                                        ; =>  This Loop Header: Depth=2
                                        ;       Child Loop BB2_19 Depth 3
                                        ;         Child Loop BB2_41 Depth 4
	s_and_not1_b32 vcc_lo, exec_lo, s22
	s_cbranch_vccnz .LBB2_16
; %bb.18:                               ;   in Loop: Header=BB2_17 Depth=2
	s_ashr_i32 s3, s2, 31
	v_mad_u64_u32 v[1:2], null, s2, s6, v[0:1]
	s_lshl_b64 s[26:27], s[2:3], 2
	s_mov_b32 s23, 0
	s_add_u32 s26, s8, s26
	s_addc_u32 s27, s9, s27
	s_load_b32 s3, s[26:27], 0x0
	s_delay_alu instid0(VALU_DEP_1)
	v_mul_lo_u32 v23, v1, s7
	s_waitcnt lgkmcnt(0)
	s_sub_i32 s21, s3, s12
	s_mul_i32 s3, s2, s7
	s_mul_i32 s21, s21, s7
.LBB2_19:                               ;   Parent Loop BB2_14 Depth=1
                                        ;     Parent Loop BB2_17 Depth=2
                                        ; =>    This Loop Header: Depth=3
                                        ;         Child Loop BB2_41 Depth 4
	s_and_b32 vcc_lo, exec_lo, s17
	s_cbranch_vccz .LBB2_25
; %bb.20:                               ;   in Loop: Header=BB2_19 Depth=3
	s_mov_b32 s26, 0
	s_mov_b32 s25, 0
                                        ; implicit-def: $vgpr1_vgpr2
	s_and_saveexec_b32 s27, s0
	s_cbranch_execz .LBB2_24
; %bb.21:                               ;   in Loop: Header=BB2_19 Depth=3
	v_add_nc_u32_e32 v3, s23, v10
	s_mov_b32 s28, exec_lo
                                        ; implicit-def: $vgpr1_vgpr2
	s_delay_alu instid0(VALU_DEP_1)
	v_cmpx_gt_i32_e64 s7, v3
	s_xor_b32 s28, exec_lo, s28
; %bb.22:                               ;   in Loop: Header=BB2_19 Depth=3
	v_add_nc_u32_e32 v3, s21, v3
	s_mov_b32 s25, exec_lo
	s_delay_alu instid0(VALU_DEP_1) | instskip(SKIP_2) | instid1(VALU_DEP_3)
	v_ashrrev_i32_e32 v4, 31, v3
	v_mul_lo_u32 v24, v3, s5
	v_mad_u64_u32 v[1:2], null, v3, s4, 0
	v_mul_lo_u32 v3, v4, s4
	s_delay_alu instid0(VALU_DEP_1) | instskip(NEXT) | instid1(VALU_DEP_1)
	v_add3_u32 v2, v2, v24, v3
	v_lshlrev_b64 v[1:2], 3, v[1:2]
	s_delay_alu instid0(VALU_DEP_1) | instskip(NEXT) | instid1(VALU_DEP_2)
	v_add_co_u32 v1, vcc_lo, v11, v1
	v_add_co_ci_u32_e32 v2, vcc_lo, v12, v2, vcc_lo
; %bb.23:                               ;   in Loop: Header=BB2_19 Depth=3
	s_or_b32 exec_lo, exec_lo, s28
	s_delay_alu instid0(SALU_CYCLE_1)
	s_and_b32 s25, s25, exec_lo
.LBB2_24:                               ;   in Loop: Header=BB2_19 Depth=3
	s_or_b32 exec_lo, exec_lo, s27
	s_delay_alu instid0(SALU_CYCLE_1)
	s_and_b32 vcc_lo, exec_lo, s26
	s_cbranch_vccnz .LBB2_26
	s_branch .LBB2_31
.LBB2_25:                               ;   in Loop: Header=BB2_19 Depth=3
	s_mov_b32 s26, -1
	s_mov_b32 s25, 0
                                        ; implicit-def: $vgpr1_vgpr2
	s_cbranch_execz .LBB2_31
.LBB2_26:                               ;   in Loop: Header=BB2_19 Depth=3
                                        ; implicit-def: $vgpr1_vgpr2
	s_and_saveexec_b32 s26, s0
	s_cbranch_execz .LBB2_30
; %bb.27:                               ;   in Loop: Header=BB2_19 Depth=3
	v_add_nc_u32_e32 v3, s23, v10
	s_mov_b32 s28, s25
	s_mov_b32 s27, exec_lo
                                        ; implicit-def: $vgpr1_vgpr2
	s_delay_alu instid0(VALU_DEP_1)
	v_cmpx_gt_i32_e64 s7, v3
; %bb.28:                               ;   in Loop: Header=BB2_19 Depth=3
	v_add_nc_u32_e32 v1, s21, v3
	s_or_b32 s28, s25, exec_lo
	s_delay_alu instid0(VALU_DEP_1) | instskip(NEXT) | instid1(VALU_DEP_1)
	v_ashrrev_i32_e32 v2, 31, v1
	v_lshlrev_b64 v[1:2], 3, v[1:2]
	s_delay_alu instid0(VALU_DEP_1) | instskip(NEXT) | instid1(VALU_DEP_2)
	v_add_co_u32 v1, vcc_lo, v15, v1
	v_add_co_ci_u32_e32 v2, vcc_lo, v16, v2, vcc_lo
; %bb.29:                               ;   in Loop: Header=BB2_19 Depth=3
	s_or_b32 exec_lo, exec_lo, s27
	s_delay_alu instid0(SALU_CYCLE_1) | instskip(SKIP_1) | instid1(SALU_CYCLE_1)
	s_and_not1_b32 s25, s25, exec_lo
	s_and_b32 s27, s28, exec_lo
	s_or_b32 s25, s25, s27
.LBB2_30:                               ;   in Loop: Header=BB2_19 Depth=3
	s_or_b32 exec_lo, exec_lo, s26
	s_mov_b32 s26, 0
.LBB2_31:                               ;   in Loop: Header=BB2_19 Depth=3
	s_delay_alu instid0(SALU_CYCLE_1)
	v_dual_mov_b32 v3, s26 :: v_dual_mov_b32 v4, s26
	s_and_saveexec_b32 s26, s25
	s_cbranch_execnz .LBB2_43
; %bb.32:                               ;   in Loop: Header=BB2_19 Depth=3
	s_or_b32 exec_lo, exec_lo, s26
	s_delay_alu instid0(SALU_CYCLE_1)
	s_and_b32 vcc_lo, exec_lo, s16
	ds_store_b64 v14, v[3:4]
	s_cbranch_vccz .LBB2_44
.LBB2_33:                               ;   in Loop: Header=BB2_19 Depth=3
	s_mov_b32 s26, 0
	s_mov_b32 s25, 0
                                        ; implicit-def: $vgpr1
	s_and_saveexec_b32 s27, s1
	s_cbranch_execz .LBB2_37
; %bb.34:                               ;   in Loop: Header=BB2_19 Depth=3
	v_add_nc_u32_e32 v2, s23, v9
	s_mov_b32 s28, exec_lo
                                        ; implicit-def: $vgpr1
	s_delay_alu instid0(VALU_DEP_1)
	v_cmpx_gt_i32_e64 s7, v2
	s_xor_b32 s28, exec_lo, s28
; %bb.35:                               ;   in Loop: Header=BB2_19 Depth=3
	v_add_nc_u32_e32 v3, s3, v2
	s_mov_b32 s25, exec_lo
	s_delay_alu instid0(VALU_DEP_1)
	v_mad_u64_u32 v[1:2], null, v3, s6, v[0:1]
; %bb.36:                               ;   in Loop: Header=BB2_19 Depth=3
	s_or_b32 exec_lo, exec_lo, s28
	s_delay_alu instid0(SALU_CYCLE_1)
	s_and_b32 s25, s25, exec_lo
.LBB2_37:                               ;   in Loop: Header=BB2_19 Depth=3
	s_or_b32 exec_lo, exec_lo, s27
	s_delay_alu instid0(SALU_CYCLE_1)
	s_and_b32 vcc_lo, exec_lo, s26
	s_cbranch_vccnz .LBB2_45
.LBB2_38:                               ;   in Loop: Header=BB2_19 Depth=3
	v_dual_mov_b32 v2, s26 :: v_dual_mov_b32 v3, s26
	s_and_saveexec_b32 s26, s25
	s_cbranch_execz .LBB2_40
.LBB2_39:                               ;   in Loop: Header=BB2_19 Depth=3
	v_ashrrev_i32_e32 v2, 31, v1
	s_delay_alu instid0(VALU_DEP_1) | instskip(NEXT) | instid1(VALU_DEP_1)
	v_lshlrev_b64 v[1:2], 3, v[1:2]
	v_add_co_u32 v1, vcc_lo, s10, v1
	s_delay_alu instid0(VALU_DEP_2)
	v_add_co_ci_u32_e32 v2, vcc_lo, s11, v2, vcc_lo
	global_load_b64 v[2:3], v[1:2], off
.LBB2_40:                               ;   in Loop: Header=BB2_19 Depth=3
	s_or_b32 exec_lo, exec_lo, s26
	v_mov_b32_e32 v1, v19
	s_mov_b32 s25, 0
	s_waitcnt vmcnt(0)
	ds_store_b64 v13, v[2:3]
	s_waitcnt lgkmcnt(0)
	s_waitcnt_vscnt null, 0x0
	s_barrier
	buffer_gl0_inv
	s_set_inst_prefetch_distance 0x1
	.p2align	6
.LBB2_41:                               ;   Parent Loop BB2_14 Depth=1
                                        ;     Parent Loop BB2_17 Depth=2
                                        ;       Parent Loop BB2_19 Depth=3
                                        ; =>      This Inner Loop Header: Depth=4
	v_add_nc_u32_e32 v2, s25, v20
	s_add_i32 s25, s25, 32
	ds_load_2addr_b64 v[24:27], v1 offset1:32
	ds_load_b128 v[28:31], v2
	ds_load_2addr_b64 v[32:35], v1 offset0:64 offset1:96
	ds_load_b128 v[36:39], v2 offset:16
	v_add_nc_u32_e32 v1, 0x400, v1
	s_cmpk_eq_i32 s25, 0x100
	s_waitcnt lgkmcnt(2)
	v_fmac_f32_e32 v21, v25, v28
	s_delay_alu instid0(VALU_DEP_1) | instskip(NEXT) | instid1(VALU_DEP_1)
	v_fmac_f32_e32 v21, v24, v29
	v_dual_fmac_f32 v22, v24, v28 :: v_dual_fmac_f32 v21, v27, v30
	s_delay_alu instid0(VALU_DEP_1) | instskip(NEXT) | instid1(VALU_DEP_1)
	v_fma_f32 v2, -v25, v29, v22
	v_fmac_f32_e32 v2, v26, v30
	s_delay_alu instid0(VALU_DEP_1) | instskip(SKIP_1) | instid1(VALU_DEP_1)
	v_fma_f32 v2, -v27, v31, v2
	s_waitcnt lgkmcnt(0)
	v_dual_fmac_f32 v21, v26, v31 :: v_dual_fmac_f32 v2, v32, v36
	s_delay_alu instid0(VALU_DEP_1) | instskip(NEXT) | instid1(VALU_DEP_1)
	v_fma_f32 v2, -v33, v37, v2
	v_dual_fmac_f32 v21, v33, v36 :: v_dual_fmac_f32 v2, v34, v38
	s_delay_alu instid0(VALU_DEP_1) | instskip(NEXT) | instid1(VALU_DEP_2)
	v_fmac_f32_e32 v21, v32, v37
	v_fma_f32 v22, -v35, v39, v2
	s_delay_alu instid0(VALU_DEP_2) | instskip(NEXT) | instid1(VALU_DEP_1)
	v_fmac_f32_e32 v21, v35, v38
	v_fmac_f32_e32 v21, v34, v39
	s_cbranch_scc0 .LBB2_41
; %bb.42:                               ;   in Loop: Header=BB2_19 Depth=3
	s_set_inst_prefetch_distance 0x2
	s_add_i32 s23, s23, 32
	s_delay_alu instid0(SALU_CYCLE_1)
	s_cmp_ge_i32 s23, s7
	s_barrier
	buffer_gl0_inv
	s_cbranch_scc0 .LBB2_19
	s_branch .LBB2_16
.LBB2_43:                               ;   in Loop: Header=BB2_19 Depth=3
	global_load_b64 v[3:4], v[1:2], off
	s_or_b32 exec_lo, exec_lo, s26
	s_delay_alu instid0(SALU_CYCLE_1)
	s_and_b32 vcc_lo, exec_lo, s16
	s_waitcnt vmcnt(0)
	ds_store_b64 v14, v[3:4]
	s_cbranch_vccnz .LBB2_33
.LBB2_44:                               ;   in Loop: Header=BB2_19 Depth=3
	s_mov_b32 s26, -1
	s_mov_b32 s25, 0
                                        ; implicit-def: $vgpr1
	s_cbranch_execz .LBB2_38
.LBB2_45:                               ;   in Loop: Header=BB2_19 Depth=3
                                        ; implicit-def: $vgpr1
	s_and_saveexec_b32 s26, s1
	s_cbranch_execz .LBB2_49
; %bb.46:                               ;   in Loop: Header=BB2_19 Depth=3
	v_add_nc_u32_e32 v2, s23, v9
	s_mov_b32 s27, s25
	s_mov_b32 s28, exec_lo
                                        ; implicit-def: $vgpr1
	s_delay_alu instid0(VALU_DEP_1)
	v_cmpx_gt_i32_e64 s7, v2
; %bb.47:                               ;   in Loop: Header=BB2_19 Depth=3
	v_add_nc_u32_e32 v1, v2, v23
	s_or_b32 s27, s25, exec_lo
; %bb.48:                               ;   in Loop: Header=BB2_19 Depth=3
	s_or_b32 exec_lo, exec_lo, s28
	s_delay_alu instid0(SALU_CYCLE_1) | instskip(SKIP_1) | instid1(SALU_CYCLE_1)
	s_and_not1_b32 s25, s25, exec_lo
	s_and_b32 s27, s27, exec_lo
	s_or_b32 s25, s25, s27
.LBB2_49:                               ;   in Loop: Header=BB2_19 Depth=3
	s_or_b32 exec_lo, exec_lo, s26
	s_mov_b32 s26, 0
	s_delay_alu instid0(SALU_CYCLE_1)
	v_dual_mov_b32 v2, s26 :: v_dual_mov_b32 v3, s26
	s_and_saveexec_b32 s26, s25
	s_cbranch_execnz .LBB2_39
	s_branch .LBB2_40
.LBB2_50:                               ;   in Loop: Header=BB2_14 Depth=1
	v_cmp_gt_i32_e32 vcc_lo, s6, v0
	s_and_b32 s2, s19, vcc_lo
	s_delay_alu instid0(SALU_CYCLE_1)
	s_and_saveexec_b32 s1, s2
	s_cbranch_execz .LBB2_13
; %bb.51:                               ;   in Loop: Header=BB2_14 Depth=1
	v_dual_mul_f32 v1, v21, v5 :: v_dual_add_nc_u32 v2, s14, v0
	v_mul_f32_e64 v0, v21, -v6
	s_delay_alu instid0(VALU_DEP_2) | instskip(NEXT) | instid1(VALU_DEP_3)
	v_ashrrev_i32_e32 v3, 31, v2
	v_fmac_f32_e32 v1, v6, v22
	s_delay_alu instid0(VALU_DEP_3) | instskip(SKIP_1) | instid1(SALU_CYCLE_1)
	v_fmac_f32_e32 v0, v5, v22
	s_and_saveexec_b32 s2, s20
	s_xor_b32 s2, exec_lo, s2
	s_cbranch_execz .LBB2_53
; %bb.52:                               ;   in Loop: Header=BB2_14 Depth=1
	v_lshlrev_b64 v[2:3], 3, v[2:3]
	s_delay_alu instid0(VALU_DEP_1) | instskip(NEXT) | instid1(VALU_DEP_2)
	v_add_co_u32 v2, vcc_lo, v17, v2
	v_add_co_ci_u32_e32 v3, vcc_lo, v18, v3, vcc_lo
	global_load_b64 v[21:22], v[2:3], off
	s_waitcnt vmcnt(0)
	v_fmac_f32_e32 v0, v7, v21
	v_fmac_f32_e32 v1, v8, v21
	s_delay_alu instid0(VALU_DEP_2) | instskip(NEXT) | instid1(VALU_DEP_2)
	v_fma_f32 v0, -v8, v22, v0
	v_fmac_f32_e32 v1, v7, v22
	global_store_b64 v[2:3], v[0:1], off
                                        ; implicit-def: $vgpr2
                                        ; implicit-def: $vgpr0
.LBB2_53:                               ;   in Loop: Header=BB2_14 Depth=1
	s_and_not1_saveexec_b32 s2, s2
	s_cbranch_execz .LBB2_13
; %bb.54:                               ;   in Loop: Header=BB2_14 Depth=1
	v_lshlrev_b64 v[2:3], 3, v[2:3]
	s_delay_alu instid0(VALU_DEP_1) | instskip(NEXT) | instid1(VALU_DEP_2)
	v_add_co_u32 v2, vcc_lo, v17, v2
	v_add_co_ci_u32_e32 v3, vcc_lo, v18, v3, vcc_lo
	global_store_b64 v[2:3], v[0:1], off
	s_branch .LBB2_13
.LBB2_55:
	s_nop 0
	s_sendmsg sendmsg(MSG_DEALLOC_VGPRS)
	s_endpgm
.LBB2_56:
	v_dual_mov_b32 v2, s2 :: v_dual_mov_b32 v3, s3
	flat_load_b32 v6, v[2:3] offset:4
	v_cmp_ne_u32_e32 vcc_lo, 1, v1
	s_waitcnt lgkmcnt(0)
	v_mov_b32_e32 v7, s6
	s_cbranch_vccnz .LBB2_4
.LBB2_57:
	v_dual_mov_b32 v2, s6 :: v_dual_mov_b32 v3, s7
	flat_load_b32 v7, v[2:3]
	v_cmp_ne_u32_e32 vcc_lo, 1, v1
	v_mov_b32_e32 v8, s7
	s_cbranch_vccz .LBB2_5
	s_branch .LBB2_6
	.section	.rodata,"a",@progbits
	.p2align	6, 0x0
	.amdhsa_kernel _ZN9rocsparseL31gebsrmm_general_blockdim_kernelILi32ELi32E21rocsparse_complex_numIfEEEv20rocsparse_direction_20rocsparse_operation_iiNS_24const_host_device_scalarIT1_EEPKiS9_PKS6_iiSB_lS7_PS6_l21rocsparse_index_base_b
		.amdhsa_group_segment_fixed_size 16384
		.amdhsa_private_segment_fixed_size 0
		.amdhsa_kernarg_size 104
		.amdhsa_user_sgpr_count 14
		.amdhsa_user_sgpr_dispatch_ptr 0
		.amdhsa_user_sgpr_queue_ptr 0
		.amdhsa_user_sgpr_kernarg_segment_ptr 1
		.amdhsa_user_sgpr_dispatch_id 0
		.amdhsa_user_sgpr_private_segment_size 0
		.amdhsa_wavefront_size32 1
		.amdhsa_uses_dynamic_stack 0
		.amdhsa_enable_private_segment 0
		.amdhsa_system_sgpr_workgroup_id_x 1
		.amdhsa_system_sgpr_workgroup_id_y 1
		.amdhsa_system_sgpr_workgroup_id_z 0
		.amdhsa_system_sgpr_workgroup_info 0
		.amdhsa_system_vgpr_workitem_id 1
		.amdhsa_next_free_vgpr 40
		.amdhsa_next_free_sgpr 29
		.amdhsa_reserve_vcc 1
		.amdhsa_float_round_mode_32 0
		.amdhsa_float_round_mode_16_64 0
		.amdhsa_float_denorm_mode_32 3
		.amdhsa_float_denorm_mode_16_64 3
		.amdhsa_dx10_clamp 1
		.amdhsa_ieee_mode 1
		.amdhsa_fp16_overflow 0
		.amdhsa_workgroup_processor_mode 1
		.amdhsa_memory_ordered 1
		.amdhsa_forward_progress 0
		.amdhsa_shared_vgpr_count 0
		.amdhsa_exception_fp_ieee_invalid_op 0
		.amdhsa_exception_fp_denorm_src 0
		.amdhsa_exception_fp_ieee_div_zero 0
		.amdhsa_exception_fp_ieee_overflow 0
		.amdhsa_exception_fp_ieee_underflow 0
		.amdhsa_exception_fp_ieee_inexact 0
		.amdhsa_exception_int_div_zero 0
	.end_amdhsa_kernel
	.section	.text._ZN9rocsparseL31gebsrmm_general_blockdim_kernelILi32ELi32E21rocsparse_complex_numIfEEEv20rocsparse_direction_20rocsparse_operation_iiNS_24const_host_device_scalarIT1_EEPKiS9_PKS6_iiSB_lS7_PS6_l21rocsparse_index_base_b,"axG",@progbits,_ZN9rocsparseL31gebsrmm_general_blockdim_kernelILi32ELi32E21rocsparse_complex_numIfEEEv20rocsparse_direction_20rocsparse_operation_iiNS_24const_host_device_scalarIT1_EEPKiS9_PKS6_iiSB_lS7_PS6_l21rocsparse_index_base_b,comdat
.Lfunc_end2:
	.size	_ZN9rocsparseL31gebsrmm_general_blockdim_kernelILi32ELi32E21rocsparse_complex_numIfEEEv20rocsparse_direction_20rocsparse_operation_iiNS_24const_host_device_scalarIT1_EEPKiS9_PKS6_iiSB_lS7_PS6_l21rocsparse_index_base_b, .Lfunc_end2-_ZN9rocsparseL31gebsrmm_general_blockdim_kernelILi32ELi32E21rocsparse_complex_numIfEEEv20rocsparse_direction_20rocsparse_operation_iiNS_24const_host_device_scalarIT1_EEPKiS9_PKS6_iiSB_lS7_PS6_l21rocsparse_index_base_b
                                        ; -- End function
	.section	.AMDGPU.csdata,"",@progbits
; Kernel info:
; codeLenInByte = 1900
; NumSgprs: 31
; NumVgprs: 40
; ScratchSize: 0
; MemoryBound: 0
; FloatMode: 240
; IeeeMode: 1
; LDSByteSize: 16384 bytes/workgroup (compile time only)
; SGPRBlocks: 3
; VGPRBlocks: 4
; NumSGPRsForWavesPerEU: 31
; NumVGPRsForWavesPerEU: 40
; Occupancy: 16
; WaveLimiterHint : 1
; COMPUTE_PGM_RSRC2:SCRATCH_EN: 0
; COMPUTE_PGM_RSRC2:USER_SGPR: 14
; COMPUTE_PGM_RSRC2:TRAP_HANDLER: 0
; COMPUTE_PGM_RSRC2:TGID_X_EN: 1
; COMPUTE_PGM_RSRC2:TGID_Y_EN: 1
; COMPUTE_PGM_RSRC2:TGID_Z_EN: 0
; COMPUTE_PGM_RSRC2:TIDIG_COMP_CNT: 1
	.section	.text._ZN9rocsparseL31gebsrmm_general_blockdim_kernelILi32ELi32E21rocsparse_complex_numIdEEEv20rocsparse_direction_20rocsparse_operation_iiNS_24const_host_device_scalarIT1_EEPKiS9_PKS6_iiSB_lS7_PS6_l21rocsparse_index_base_b,"axG",@progbits,_ZN9rocsparseL31gebsrmm_general_blockdim_kernelILi32ELi32E21rocsparse_complex_numIdEEEv20rocsparse_direction_20rocsparse_operation_iiNS_24const_host_device_scalarIT1_EEPKiS9_PKS6_iiSB_lS7_PS6_l21rocsparse_index_base_b,comdat
	.globl	_ZN9rocsparseL31gebsrmm_general_blockdim_kernelILi32ELi32E21rocsparse_complex_numIdEEEv20rocsparse_direction_20rocsparse_operation_iiNS_24const_host_device_scalarIT1_EEPKiS9_PKS6_iiSB_lS7_PS6_l21rocsparse_index_base_b ; -- Begin function _ZN9rocsparseL31gebsrmm_general_blockdim_kernelILi32ELi32E21rocsparse_complex_numIdEEEv20rocsparse_direction_20rocsparse_operation_iiNS_24const_host_device_scalarIT1_EEPKiS9_PKS6_iiSB_lS7_PS6_l21rocsparse_index_base_b
	.p2align	8
	.type	_ZN9rocsparseL31gebsrmm_general_blockdim_kernelILi32ELi32E21rocsparse_complex_numIdEEEv20rocsparse_direction_20rocsparse_operation_iiNS_24const_host_device_scalarIT1_EEPKiS9_PKS6_iiSB_lS7_PS6_l21rocsparse_index_base_b,@function
_ZN9rocsparseL31gebsrmm_general_blockdim_kernelILi32ELi32E21rocsparse_complex_numIdEEEv20rocsparse_direction_20rocsparse_operation_iiNS_24const_host_device_scalarIT1_EEPKiS9_PKS6_iiSB_lS7_PS6_l21rocsparse_index_base_b: ; @_ZN9rocsparseL31gebsrmm_general_blockdim_kernelILi32ELi32E21rocsparse_complex_numIdEEEv20rocsparse_direction_20rocsparse_operation_iiNS_24const_host_device_scalarIT1_EEPKiS9_PKS6_iiSB_lS7_PS6_l21rocsparse_index_base_b
; %bb.0:
	s_clause 0x1
	s_load_b64 s[12:13], s[2:3], 0x70
	s_load_b128 s[8:11], s[2:3], 0x10
	s_load_b64 s[16:17], s[0:1], 0x4
	s_mov_b64 s[0:1], src_shared_base
	v_and_b32_e32 v19, 0x3ff, v0
	s_load_b128 s[4:7], s[2:3], 0x48
	v_bfe_u32 v20, v0, 10, 10
	v_bfe_u32 v0, v0, 20, 10
	s_waitcnt lgkmcnt(0)
	s_bitcmp1_b32 s13, 0
	s_cselect_b32 s0, -1, 0
	s_delay_alu instid0(SALU_CYCLE_1) | instskip(SKIP_2) | instid1(SALU_CYCLE_1)
	s_and_b32 vcc_lo, s0, exec_lo
	s_cselect_b32 s13, s1, s9
	s_lshr_b32 s16, s16, 16
	s_mul_i32 s16, s16, s17
	s_delay_alu instid0(SALU_CYCLE_1) | instskip(NEXT) | instid1(VALU_DEP_1)
	v_mul_lo_u32 v1, s16, v19
	v_mad_u32_u24 v1, v20, s17, v1
	s_load_b64 s[16:17], s[2:3], 0x58
	v_dual_mov_b32 v2, s6 :: v_dual_mov_b32 v3, s7
	s_delay_alu instid0(VALU_DEP_2) | instskip(SKIP_1) | instid1(VALU_DEP_2)
	v_add_lshl_u32 v6, v1, v0, 3
	v_dual_mov_b32 v0, s8 :: v_dual_mov_b32 v5, s13
	v_dual_mov_b32 v1, s9 :: v_dual_add_nc_u32 v4, 0xa000, v6
	ds_store_2addr_stride64_b64 v6, v[2:3], v[0:1] offset0:64 offset1:80
	v_add_nc_u32_e32 v0, 0x8000, v6
	v_cndmask_b32_e64 v4, s8, v4, s0
	v_dual_mov_b32 v6, s10 :: v_dual_mov_b32 v7, s11
	s_xor_b32 s10, s0, -1
	flat_load_b64 v[4:5], v[4:5]
	s_cbranch_vccnz .LBB3_2
; %bb.1:
	v_dual_mov_b32 v1, s8 :: v_dual_mov_b32 v2, s9
	flat_load_b64 v[6:7], v[1:2] offset:8
.LBB3_2:
	s_and_b32 s8, s0, exec_lo
	s_cselect_b32 s1, s1, s7
	v_cndmask_b32_e64 v0, s6, v0, s0
	s_waitcnt lgkmcnt(0)
	v_dual_mov_b32 v1, s1 :: v_dual_mov_b32 v10, s16
	v_mov_b32_e32 v11, s17
	s_and_not1_b32 vcc_lo, exec_lo, s10
	flat_load_b64 v[8:9], v[0:1]
	s_cbranch_vccnz .LBB3_4
; %bb.3:
	v_dual_mov_b32 v0, s6 :: v_dual_mov_b32 v1, s7
	flat_load_b64 v[10:11], v[0:1] offset:8
.LBB3_4:
	s_waitcnt vmcnt(1)
	v_cmp_eq_f64_e32 vcc_lo, 0, v[4:5]
	v_cmp_eq_f64_e64 s0, 0, v[6:7]
	s_delay_alu instid0(VALU_DEP_1)
	s_and_b32 s6, vcc_lo, s0
	s_mov_b32 s0, -1
	s_and_saveexec_b32 s1, s6
	s_cbranch_execz .LBB3_6
; %bb.5:
	s_waitcnt vmcnt(0) lgkmcnt(0)
	v_cmp_neq_f64_e32 vcc_lo, 1.0, v[8:9]
	v_cmp_neq_f64_e64 s0, 0, v[10:11]
	s_delay_alu instid0(VALU_DEP_1) | instskip(NEXT) | instid1(SALU_CYCLE_1)
	s_or_b32 s0, vcc_lo, s0
	s_or_not1_b32 s0, s0, exec_lo
.LBB3_6:
	s_or_b32 exec_lo, exec_lo, s1
	s_and_saveexec_b32 s1, s0
	s_cbranch_execz .LBB3_53
; %bb.7:
	s_load_b128 s[16:19], s[2:3], 0x0
	s_mov_b32 s13, 0
	s_waitcnt lgkmcnt(0)
	s_cmp_lt_i32 s14, s18
	s_cselect_b32 s27, -1, 0
	s_cmp_ge_i32 s14, s18
	s_mov_b32 s18, 0
	s_cbranch_scc1 .LBB3_9
; %bb.8:
	s_load_b64 s[6:7], s[2:3], 0x20
	s_mov_b32 s0, s15
	s_ashr_i32 s15, s14, 31
	s_delay_alu instid0(SALU_CYCLE_1)
	s_lshl_b64 s[8:9], s[14:15], 2
	s_mov_b32 s15, s0
	s_waitcnt lgkmcnt(0)
	s_add_u32 s0, s6, s8
	s_addc_u32 s1, s7, s9
	s_load_b64 s[0:1], s[0:1], 0x0
	s_waitcnt lgkmcnt(0)
	s_sub_i32 s18, s0, s12
	s_sub_i32 s13, s1, s12
.LBB3_9:
	s_load_b64 s[6:7], s[2:3], 0x38
	s_waitcnt lgkmcnt(0)
	s_cmp_lt_i32 s6, 1
	s_cbranch_scc1 .LBB3_53
; %bb.10:
	s_clause 0x2
	s_load_b128 s[20:23], s[2:3], 0x60
	s_load_b128 s[8:11], s[2:3], 0x28
	s_load_b64 s[2:3], s[2:3], 0x40
	s_waitcnt vmcnt(0)
	v_cmp_neq_f64_e32 vcc_lo, 0, v[8:9]
	v_cmp_neq_f64_e64 s1, 0, v[10:11]
	v_lshl_add_u32 v0, s15, 5, v20
	v_lshlrev_b32_e32 v23, 5, v20
	s_cmp_lt_i32 s18, s13
	v_lshlrev_b32_e32 v29, 4, v19
	s_cselect_b32 s26, -1, 0
	v_ashrrev_i32_e32 v1, 31, v0
	v_mul_lo_u32 v16, v0, s5
	v_mad_u64_u32 v[2:3], null, v0, s4, 0
	v_add_lshl_u32 v23, v23, v19, 4
	s_delay_alu instid0(VALU_DEP_4)
	v_mul_lo_u32 v17, v1, s4
	v_lshlrev_b64 v[12:13], 4, v[0:1]
	s_cmp_gt_i32 s7, 0
	v_lshl_add_u32 v30, v20, 9, 0x4000
	v_add_nc_u32_e32 v24, 0x4000, v23
	s_waitcnt lgkmcnt(0)
	v_mul_lo_u32 v1, v1, s22
	v_mul_lo_u32 v18, v0, s23
	v_mad_u64_u32 v[14:15], null, v0, s22, 0
	v_add3_u32 v3, v3, v16, v17
	v_add_co_u32 v21, s0, s2, v12
	s_delay_alu instid0(VALU_DEP_1)
	v_add_co_ci_u32_e64 v22, s0, s3, v13, s0
	v_cmp_gt_i32_e64 s0, s19, v0
	v_add3_u32 v15, v15, v18, v1
	v_lshlrev_b64 v[1:2], 4, v[2:3]
	s_cselect_b32 s22, -1, 0
	s_cmpk_lg_i32 s17, 0x6f
	s_mul_i32 s24, s14, s6
	v_lshlrev_b64 v[12:13], 4, v[14:15]
	s_cselect_b32 s17, -1, 0
	v_add_co_u32 v25, s2, s2, v1
	s_delay_alu instid0(VALU_DEP_1) | instskip(NEXT) | instid1(VALU_DEP_3)
	v_add_co_ci_u32_e64 v26, s2, s3, v2, s2
	v_add_co_u32 v27, s2, s20, v12
	s_delay_alu instid0(VALU_DEP_1)
	v_add_co_ci_u32_e64 v28, s2, s21, v13, s2
	s_cmp_lg_u32 s16, 0
	s_mov_b32 s25, 0
	s_cselect_b32 s16, -1, 0
	s_and_b32 s19, s27, s0
	s_or_b32 s20, vcc_lo, s1
	s_branch .LBB3_12
.LBB3_11:                               ;   in Loop: Header=BB3_12 Depth=1
	s_or_b32 exec_lo, exec_lo, s1
	s_add_i32 s25, s25, 32
	s_delay_alu instid0(SALU_CYCLE_1)
	s_cmp_lt_i32 s25, s6
	s_cbranch_scc0 .LBB3_53
.LBB3_12:                               ; =>This Loop Header: Depth=1
                                        ;     Child Loop BB3_15 Depth 2
                                        ;       Child Loop BB3_17 Depth 3
                                        ;         Child Loop BB3_46 Depth 4
	v_dual_mov_b32 v13, 0 :: v_dual_add_nc_u32 v12, s25, v19
	v_mov_b32_e32 v14, 0
	s_and_not1_b32 vcc_lo, exec_lo, s26
	s_delay_alu instid0(VALU_DEP_2) | instskip(NEXT) | instid1(VALU_DEP_2)
	v_cmp_gt_i32_e64 s1, s6, v12
	v_dual_mov_b32 v16, v14 :: v_dual_mov_b32 v15, v13
	s_cbranch_vccnz .LBB3_48
; %bb.13:                               ;   in Loop: Header=BB3_12 Depth=1
	v_mov_b32_e32 v13, 0
	v_mov_b32_e32 v14, 0
	s_mov_b32 s2, s18
	s_delay_alu instid0(VALU_DEP_1)
	v_dual_mov_b32 v16, v14 :: v_dual_mov_b32 v15, v13
	s_branch .LBB3_15
.LBB3_14:                               ;   in Loop: Header=BB3_15 Depth=2
	s_add_i32 s2, s2, 1
	s_delay_alu instid0(SALU_CYCLE_1)
	s_cmp_ge_i32 s2, s13
	s_cbranch_scc1 .LBB3_48
.LBB3_15:                               ;   Parent Loop BB3_12 Depth=1
                                        ; =>  This Loop Header: Depth=2
                                        ;       Child Loop BB3_17 Depth 3
                                        ;         Child Loop BB3_46 Depth 4
	s_and_not1_b32 vcc_lo, exec_lo, s22
	s_cbranch_vccnz .LBB3_14
; %bb.16:                               ;   in Loop: Header=BB3_15 Depth=2
	s_ashr_i32 s3, s2, 31
	v_mad_u64_u32 v[0:1], null, s2, s6, v[12:13]
	s_lshl_b64 s[14:15], s[2:3], 2
	s_mov_b32 s23, 0
	s_add_u32 s14, s8, s14
	s_addc_u32 s15, s9, s15
	s_load_b32 s3, s[14:15], 0x0
	s_delay_alu instid0(VALU_DEP_1)
	v_mul_lo_u32 v31, v0, s7
	s_waitcnt lgkmcnt(0)
	s_sub_i32 s21, s3, s12
	s_mul_i32 s3, s2, s7
	s_mul_i32 s21, s21, s7
.LBB3_17:                               ;   Parent Loop BB3_12 Depth=1
                                        ;     Parent Loop BB3_15 Depth=2
                                        ; =>    This Loop Header: Depth=3
                                        ;         Child Loop BB3_46 Depth 4
	s_and_b32 vcc_lo, exec_lo, s17
	s_cbranch_vccz .LBB3_23
; %bb.18:                               ;   in Loop: Header=BB3_17 Depth=3
	s_mov_b32 s28, 0
	s_mov_b32 s27, 0
                                        ; implicit-def: $vgpr17_vgpr18
	s_and_saveexec_b32 s14, s0
	s_cbranch_execz .LBB3_22
; %bb.19:                               ;   in Loop: Header=BB3_17 Depth=3
	v_add_nc_u32_e32 v0, s23, v19
	s_mov_b32 s15, 0
	s_mov_b32 s27, exec_lo
                                        ; implicit-def: $vgpr17_vgpr18
	s_delay_alu instid0(VALU_DEP_1)
	v_cmpx_gt_i32_e64 s7, v0
	s_xor_b32 s27, exec_lo, s27
; %bb.20:                               ;   in Loop: Header=BB3_17 Depth=3
	v_add_nc_u32_e32 v2, s21, v0
	s_mov_b32 s15, exec_lo
	s_delay_alu instid0(VALU_DEP_1) | instskip(SKIP_2) | instid1(VALU_DEP_3)
	v_ashrrev_i32_e32 v3, 31, v2
	v_mul_lo_u32 v17, v2, s5
	v_mad_u64_u32 v[0:1], null, v2, s4, 0
	v_mul_lo_u32 v2, v3, s4
	s_delay_alu instid0(VALU_DEP_1) | instskip(NEXT) | instid1(VALU_DEP_1)
	v_add3_u32 v1, v1, v17, v2
	v_lshlrev_b64 v[0:1], 4, v[0:1]
	s_delay_alu instid0(VALU_DEP_1) | instskip(NEXT) | instid1(VALU_DEP_2)
	v_add_co_u32 v17, vcc_lo, v21, v0
	v_add_co_ci_u32_e32 v18, vcc_lo, v22, v1, vcc_lo
; %bb.21:                               ;   in Loop: Header=BB3_17 Depth=3
	s_or_b32 exec_lo, exec_lo, s27
	s_delay_alu instid0(SALU_CYCLE_1)
	s_and_b32 s27, s15, exec_lo
.LBB3_22:                               ;   in Loop: Header=BB3_17 Depth=3
	s_or_b32 exec_lo, exec_lo, s14
	s_mov_b64 s[14:15], 0
	s_and_b32 vcc_lo, exec_lo, s28
	s_cbranch_vccnz .LBB3_24
	s_branch .LBB3_29
.LBB3_23:                               ;   in Loop: Header=BB3_17 Depth=3
	s_mov_b32 s27, 0
                                        ; implicit-def: $vgpr17_vgpr18
                                        ; implicit-def: $sgpr14_sgpr15
	s_cbranch_execz .LBB3_29
.LBB3_24:                               ;   in Loop: Header=BB3_17 Depth=3
                                        ; implicit-def: $vgpr17_vgpr18
	s_and_saveexec_b32 s14, s0
	s_cbranch_execz .LBB3_28
; %bb.25:                               ;   in Loop: Header=BB3_17 Depth=3
	v_add_nc_u32_e32 v0, s23, v19
	s_mov_b32 s28, s27
	s_mov_b32 s15, exec_lo
                                        ; implicit-def: $vgpr17_vgpr18
	s_delay_alu instid0(VALU_DEP_1)
	v_cmpx_gt_i32_e64 s7, v0
; %bb.26:                               ;   in Loop: Header=BB3_17 Depth=3
	v_add_nc_u32_e32 v0, s21, v0
	s_or_b32 s28, s27, exec_lo
	s_delay_alu instid0(VALU_DEP_1) | instskip(NEXT) | instid1(VALU_DEP_1)
	v_ashrrev_i32_e32 v1, 31, v0
	v_lshlrev_b64 v[0:1], 4, v[0:1]
	s_delay_alu instid0(VALU_DEP_1) | instskip(NEXT) | instid1(VALU_DEP_2)
	v_add_co_u32 v17, vcc_lo, v25, v0
	v_add_co_ci_u32_e32 v18, vcc_lo, v26, v1, vcc_lo
; %bb.27:                               ;   in Loop: Header=BB3_17 Depth=3
	s_or_b32 exec_lo, exec_lo, s15
	s_delay_alu instid0(SALU_CYCLE_1) | instskip(SKIP_1) | instid1(SALU_CYCLE_1)
	s_and_not1_b32 s15, s27, exec_lo
	s_and_b32 s27, s28, exec_lo
	s_or_b32 s27, s15, s27
.LBB3_28:                               ;   in Loop: Header=BB3_17 Depth=3
	s_or_b32 exec_lo, exec_lo, s14
	s_mov_b64 s[14:15], 0
.LBB3_29:                               ;   in Loop: Header=BB3_17 Depth=3
	s_delay_alu instid0(SALU_CYCLE_1)
	v_dual_mov_b32 v0, s14 :: v_dual_mov_b32 v1, s15
	v_dual_mov_b32 v2, s14 :: v_dual_mov_b32 v3, s15
	s_and_saveexec_b32 s14, s27
	s_cbranch_execz .LBB3_31
; %bb.30:                               ;   in Loop: Header=BB3_17 Depth=3
	global_load_b128 v[0:3], v[17:18], off
.LBB3_31:                               ;   in Loop: Header=BB3_17 Depth=3
	s_or_b32 exec_lo, exec_lo, s14
	s_delay_alu instid0(SALU_CYCLE_1)
	s_and_b32 vcc_lo, exec_lo, s16
	s_waitcnt vmcnt(0)
	ds_store_b128 v24, v[0:3]
	s_cbranch_vccz .LBB3_37
; %bb.32:                               ;   in Loop: Header=BB3_17 Depth=3
	s_mov_b32 s28, 0
	s_mov_b32 s27, 0
                                        ; implicit-def: $vgpr17
	s_and_saveexec_b32 s14, s1
	s_cbranch_execz .LBB3_36
; %bb.33:                               ;   in Loop: Header=BB3_17 Depth=3
	v_add_nc_u32_e32 v0, s23, v20
	s_mov_b32 s15, 0
	s_mov_b32 s27, exec_lo
                                        ; implicit-def: $vgpr17
	s_delay_alu instid0(VALU_DEP_1)
	v_cmpx_gt_i32_e64 s7, v0
	s_xor_b32 s27, exec_lo, s27
; %bb.34:                               ;   in Loop: Header=BB3_17 Depth=3
	v_add_nc_u32_e32 v0, s3, v0
	s_mov_b32 s15, exec_lo
	s_delay_alu instid0(VALU_DEP_1)
	v_mad_u64_u32 v[17:18], null, v0, s6, v[12:13]
; %bb.35:                               ;   in Loop: Header=BB3_17 Depth=3
	s_or_b32 exec_lo, exec_lo, s27
	s_delay_alu instid0(SALU_CYCLE_1)
	s_and_b32 s27, s15, exec_lo
.LBB3_36:                               ;   in Loop: Header=BB3_17 Depth=3
	s_or_b32 exec_lo, exec_lo, s14
	s_mov_b64 s[14:15], 0
	s_and_b32 vcc_lo, exec_lo, s28
	s_cbranch_vccnz .LBB3_38
	s_branch .LBB3_43
.LBB3_37:                               ;   in Loop: Header=BB3_17 Depth=3
	s_mov_b32 s27, 0
                                        ; implicit-def: $vgpr17
                                        ; implicit-def: $sgpr14_sgpr15
	s_cbranch_execz .LBB3_43
.LBB3_38:                               ;   in Loop: Header=BB3_17 Depth=3
                                        ; implicit-def: $vgpr17
	s_and_saveexec_b32 s14, s1
	s_cbranch_execz .LBB3_42
; %bb.39:                               ;   in Loop: Header=BB3_17 Depth=3
	v_add_nc_u32_e32 v0, s23, v20
	s_mov_b32 s15, s27
	s_mov_b32 s28, exec_lo
                                        ; implicit-def: $vgpr17
	s_delay_alu instid0(VALU_DEP_1)
	v_cmpx_gt_i32_e64 s7, v0
; %bb.40:                               ;   in Loop: Header=BB3_17 Depth=3
	v_add_nc_u32_e32 v17, v0, v31
	s_or_b32 s15, s27, exec_lo
; %bb.41:                               ;   in Loop: Header=BB3_17 Depth=3
	s_or_b32 exec_lo, exec_lo, s28
	s_delay_alu instid0(SALU_CYCLE_1) | instskip(SKIP_1) | instid1(SALU_CYCLE_1)
	s_and_not1_b32 s27, s27, exec_lo
	s_and_b32 s15, s15, exec_lo
	s_or_b32 s27, s27, s15
.LBB3_42:                               ;   in Loop: Header=BB3_17 Depth=3
	s_or_b32 exec_lo, exec_lo, s14
	s_mov_b64 s[14:15], 0
.LBB3_43:                               ;   in Loop: Header=BB3_17 Depth=3
	s_delay_alu instid0(SALU_CYCLE_1)
	v_dual_mov_b32 v0, s14 :: v_dual_mov_b32 v1, s15
	v_dual_mov_b32 v2, s14 :: v_dual_mov_b32 v3, s15
	s_and_saveexec_b32 s14, s27
	s_cbranch_execz .LBB3_45
; %bb.44:                               ;   in Loop: Header=BB3_17 Depth=3
	v_ashrrev_i32_e32 v18, 31, v17
	s_delay_alu instid0(VALU_DEP_1) | instskip(NEXT) | instid1(VALU_DEP_1)
	v_lshlrev_b64 v[0:1], 4, v[17:18]
	v_add_co_u32 v0, vcc_lo, s10, v0
	s_delay_alu instid0(VALU_DEP_2)
	v_add_co_ci_u32_e32 v1, vcc_lo, s11, v1, vcc_lo
	global_load_b128 v[0:3], v[0:1], off
.LBB3_45:                               ;   in Loop: Header=BB3_17 Depth=3
	s_or_b32 exec_lo, exec_lo, s14
	s_waitcnt vmcnt(0)
	ds_store_b128 v23, v[0:3]
	v_mov_b32_e32 v0, v29
	s_mov_b32 s14, 0
	s_waitcnt lgkmcnt(0)
	s_waitcnt_vscnt null, 0x0
	s_barrier
	buffer_gl0_inv
.LBB3_46:                               ;   Parent Loop BB3_12 Depth=1
                                        ;     Parent Loop BB3_15 Depth=2
                                        ;       Parent Loop BB3_17 Depth=3
                                        ; =>      This Inner Loop Header: Depth=4
	v_add_nc_u32_e32 v3, s14, v30
	s_add_i32 s14, s14, 64
	ds_load_b128 v[32:35], v0
	ds_load_b128 v[36:39], v3
	ds_load_b128 v[40:43], v0 offset:512
	ds_load_b128 v[44:47], v3 offset:16
	s_cmpk_eq_i32 s14, 0x200
	s_waitcnt lgkmcnt(2)
	v_fma_f64 v[1:2], v[32:33], v[36:37], v[15:16]
	v_fma_f64 v[13:14], v[34:35], v[36:37], v[13:14]
	s_delay_alu instid0(VALU_DEP_2) | instskip(NEXT) | instid1(VALU_DEP_2)
	v_fma_f64 v[1:2], -v[34:35], v[38:39], v[1:2]
	v_fma_f64 v[13:14], v[32:33], v[38:39], v[13:14]
	s_waitcnt lgkmcnt(0)
	s_delay_alu instid0(VALU_DEP_2) | instskip(NEXT) | instid1(VALU_DEP_2)
	v_fma_f64 v[1:2], v[40:41], v[44:45], v[1:2]
	v_fma_f64 v[13:14], v[42:43], v[44:45], v[13:14]
	s_delay_alu instid0(VALU_DEP_2) | instskip(NEXT) | instid1(VALU_DEP_2)
	v_fma_f64 v[1:2], -v[42:43], v[46:47], v[1:2]
	v_fma_f64 v[17:18], v[40:41], v[46:47], v[13:14]
	ds_load_b128 v[13:16], v0 offset:1024
	ds_load_b128 v[32:35], v3 offset:32
	;; [unrolled: 1-line block ×4, first 2 shown]
	v_add_nc_u32_e32 v0, 0x800, v0
	s_waitcnt lgkmcnt(2)
	v_fma_f64 v[1:2], v[13:14], v[32:33], v[1:2]
	v_fma_f64 v[17:18], v[15:16], v[32:33], v[17:18]
	s_delay_alu instid0(VALU_DEP_2) | instskip(NEXT) | instid1(VALU_DEP_2)
	v_fma_f64 v[1:2], -v[15:16], v[34:35], v[1:2]
	v_fma_f64 v[13:14], v[13:14], v[34:35], v[17:18]
	s_waitcnt lgkmcnt(0)
	s_delay_alu instid0(VALU_DEP_2) | instskip(NEXT) | instid1(VALU_DEP_2)
	v_fma_f64 v[1:2], v[36:37], v[40:41], v[1:2]
	v_fma_f64 v[13:14], v[38:39], v[40:41], v[13:14]
	s_delay_alu instid0(VALU_DEP_2) | instskip(NEXT) | instid1(VALU_DEP_2)
	v_fma_f64 v[15:16], -v[38:39], v[42:43], v[1:2]
	v_fma_f64 v[13:14], v[36:37], v[42:43], v[13:14]
	s_cbranch_scc0 .LBB3_46
; %bb.47:                               ;   in Loop: Header=BB3_17 Depth=3
	s_add_i32 s23, s23, 32
	s_delay_alu instid0(SALU_CYCLE_1)
	s_cmp_ge_i32 s23, s7
	s_barrier
	buffer_gl0_inv
	s_cbranch_scc0 .LBB3_17
	s_branch .LBB3_14
.LBB3_48:                               ;   in Loop: Header=BB3_12 Depth=1
	v_cmp_gt_i32_e32 vcc_lo, s6, v12
	s_and_b32 s2, s19, vcc_lo
	s_delay_alu instid0(SALU_CYCLE_1)
	s_and_saveexec_b32 s1, s2
	s_cbranch_execz .LBB3_11
; %bb.49:                               ;   in Loop: Header=BB3_12 Depth=1
	v_mul_f64 v[0:1], v[13:14], -v[6:7]
	v_mul_f64 v[2:3], v[4:5], v[13:14]
	v_add_nc_u32_e32 v12, s24, v12
	s_delay_alu instid0(VALU_DEP_1) | instskip(NEXT) | instid1(VALU_DEP_4)
	v_ashrrev_i32_e32 v13, 31, v12
	v_fma_f64 v[0:1], v[4:5], v[15:16], v[0:1]
	s_delay_alu instid0(VALU_DEP_4) | instskip(SKIP_1) | instid1(SALU_CYCLE_1)
	v_fma_f64 v[2:3], v[6:7], v[15:16], v[2:3]
	s_and_saveexec_b32 s2, s20
	s_xor_b32 s2, exec_lo, s2
	s_cbranch_execz .LBB3_51
; %bb.50:                               ;   in Loop: Header=BB3_12 Depth=1
	v_lshlrev_b64 v[12:13], 4, v[12:13]
	s_delay_alu instid0(VALU_DEP_1) | instskip(NEXT) | instid1(VALU_DEP_2)
	v_add_co_u32 v16, vcc_lo, v27, v12
	v_add_co_ci_u32_e32 v17, vcc_lo, v28, v13, vcc_lo
	global_load_b128 v[12:15], v[16:17], off
	s_waitcnt vmcnt(0)
	v_fma_f64 v[0:1], v[8:9], v[12:13], v[0:1]
	v_fma_f64 v[2:3], v[10:11], v[12:13], v[2:3]
                                        ; implicit-def: $vgpr12
	s_delay_alu instid0(VALU_DEP_2) | instskip(NEXT) | instid1(VALU_DEP_2)
	v_fma_f64 v[0:1], -v[10:11], v[14:15], v[0:1]
	v_fma_f64 v[2:3], v[8:9], v[14:15], v[2:3]
	global_store_b128 v[16:17], v[0:3], off
                                        ; implicit-def: $vgpr0_vgpr1
.LBB3_51:                               ;   in Loop: Header=BB3_12 Depth=1
	s_and_not1_saveexec_b32 s2, s2
	s_cbranch_execz .LBB3_11
; %bb.52:                               ;   in Loop: Header=BB3_12 Depth=1
	v_lshlrev_b64 v[12:13], 4, v[12:13]
	s_delay_alu instid0(VALU_DEP_1) | instskip(NEXT) | instid1(VALU_DEP_2)
	v_add_co_u32 v12, vcc_lo, v27, v12
	v_add_co_ci_u32_e32 v13, vcc_lo, v28, v13, vcc_lo
	global_store_b128 v[12:13], v[0:3], off
	s_branch .LBB3_11
.LBB3_53:
	s_nop 0
	s_sendmsg sendmsg(MSG_DEALLOC_VGPRS)
	s_endpgm
	.section	.rodata,"a",@progbits
	.p2align	6, 0x0
	.amdhsa_kernel _ZN9rocsparseL31gebsrmm_general_blockdim_kernelILi32ELi32E21rocsparse_complex_numIdEEEv20rocsparse_direction_20rocsparse_operation_iiNS_24const_host_device_scalarIT1_EEPKiS9_PKS6_iiSB_lS7_PS6_l21rocsparse_index_base_b
		.amdhsa_group_segment_fixed_size 49152
		.amdhsa_private_segment_fixed_size 0
		.amdhsa_kernarg_size 120
		.amdhsa_user_sgpr_count 14
		.amdhsa_user_sgpr_dispatch_ptr 1
		.amdhsa_user_sgpr_queue_ptr 0
		.amdhsa_user_sgpr_kernarg_segment_ptr 1
		.amdhsa_user_sgpr_dispatch_id 0
		.amdhsa_user_sgpr_private_segment_size 0
		.amdhsa_wavefront_size32 1
		.amdhsa_uses_dynamic_stack 0
		.amdhsa_enable_private_segment 0
		.amdhsa_system_sgpr_workgroup_id_x 1
		.amdhsa_system_sgpr_workgroup_id_y 1
		.amdhsa_system_sgpr_workgroup_id_z 0
		.amdhsa_system_sgpr_workgroup_info 0
		.amdhsa_system_vgpr_workitem_id 2
		.amdhsa_next_free_vgpr 48
		.amdhsa_next_free_sgpr 29
		.amdhsa_reserve_vcc 1
		.amdhsa_float_round_mode_32 0
		.amdhsa_float_round_mode_16_64 0
		.amdhsa_float_denorm_mode_32 3
		.amdhsa_float_denorm_mode_16_64 3
		.amdhsa_dx10_clamp 1
		.amdhsa_ieee_mode 1
		.amdhsa_fp16_overflow 0
		.amdhsa_workgroup_processor_mode 1
		.amdhsa_memory_ordered 1
		.amdhsa_forward_progress 0
		.amdhsa_shared_vgpr_count 0
		.amdhsa_exception_fp_ieee_invalid_op 0
		.amdhsa_exception_fp_denorm_src 0
		.amdhsa_exception_fp_ieee_div_zero 0
		.amdhsa_exception_fp_ieee_overflow 0
		.amdhsa_exception_fp_ieee_underflow 0
		.amdhsa_exception_fp_ieee_inexact 0
		.amdhsa_exception_int_div_zero 0
	.end_amdhsa_kernel
	.section	.text._ZN9rocsparseL31gebsrmm_general_blockdim_kernelILi32ELi32E21rocsparse_complex_numIdEEEv20rocsparse_direction_20rocsparse_operation_iiNS_24const_host_device_scalarIT1_EEPKiS9_PKS6_iiSB_lS7_PS6_l21rocsparse_index_base_b,"axG",@progbits,_ZN9rocsparseL31gebsrmm_general_blockdim_kernelILi32ELi32E21rocsparse_complex_numIdEEEv20rocsparse_direction_20rocsparse_operation_iiNS_24const_host_device_scalarIT1_EEPKiS9_PKS6_iiSB_lS7_PS6_l21rocsparse_index_base_b,comdat
.Lfunc_end3:
	.size	_ZN9rocsparseL31gebsrmm_general_blockdim_kernelILi32ELi32E21rocsparse_complex_numIdEEEv20rocsparse_direction_20rocsparse_operation_iiNS_24const_host_device_scalarIT1_EEPKiS9_PKS6_iiSB_lS7_PS6_l21rocsparse_index_base_b, .Lfunc_end3-_ZN9rocsparseL31gebsrmm_general_blockdim_kernelILi32ELi32E21rocsparse_complex_numIdEEEv20rocsparse_direction_20rocsparse_operation_iiNS_24const_host_device_scalarIT1_EEPKiS9_PKS6_iiSB_lS7_PS6_l21rocsparse_index_base_b
                                        ; -- End function
	.section	.AMDGPU.csdata,"",@progbits
; Kernel info:
; codeLenInByte = 2088
; NumSgprs: 31
; NumVgprs: 48
; ScratchSize: 0
; MemoryBound: 1
; FloatMode: 240
; IeeeMode: 1
; LDSByteSize: 49152 bytes/workgroup (compile time only)
; SGPRBlocks: 3
; VGPRBlocks: 5
; NumSGPRsForWavesPerEU: 31
; NumVGPRsForWavesPerEU: 48
; Occupancy: 16
; WaveLimiterHint : 0
; COMPUTE_PGM_RSRC2:SCRATCH_EN: 0
; COMPUTE_PGM_RSRC2:USER_SGPR: 14
; COMPUTE_PGM_RSRC2:TRAP_HANDLER: 0
; COMPUTE_PGM_RSRC2:TGID_X_EN: 1
; COMPUTE_PGM_RSRC2:TGID_Y_EN: 1
; COMPUTE_PGM_RSRC2:TGID_Z_EN: 0
; COMPUTE_PGM_RSRC2:TIDIG_COMP_CNT: 2
	.text
	.p2alignl 7, 3214868480
	.fill 96, 4, 3214868480
	.type	__hip_cuid_a4105417efc70b5d,@object ; @__hip_cuid_a4105417efc70b5d
	.section	.bss,"aw",@nobits
	.globl	__hip_cuid_a4105417efc70b5d
__hip_cuid_a4105417efc70b5d:
	.byte	0                               ; 0x0
	.size	__hip_cuid_a4105417efc70b5d, 1

	.ident	"AMD clang version 19.0.0git (https://github.com/RadeonOpenCompute/llvm-project roc-6.4.0 25133 c7fe45cf4b819c5991fe208aaa96edf142730f1d)"
	.section	".note.GNU-stack","",@progbits
	.addrsig
	.addrsig_sym __hip_cuid_a4105417efc70b5d
	.amdgpu_metadata
---
amdhsa.kernels:
  - .args:
      - .offset:         0
        .size:           4
        .value_kind:     by_value
      - .offset:         4
        .size:           4
        .value_kind:     by_value
      - .offset:         8
        .size:           4
        .value_kind:     by_value
      - .offset:         12
        .size:           4
        .value_kind:     by_value
      - .offset:         16
        .size:           8
        .value_kind:     by_value
      - .actual_access:  read_only
        .address_space:  global
        .offset:         24
        .size:           8
        .value_kind:     global_buffer
      - .actual_access:  read_only
        .address_space:  global
        .offset:         32
        .size:           8
        .value_kind:     global_buffer
      - .actual_access:  read_only
        .address_space:  global
        .offset:         40
        .size:           8
        .value_kind:     global_buffer
      - .offset:         48
        .size:           4
        .value_kind:     by_value
      - .offset:         52
        .size:           4
        .value_kind:     by_value
      - .actual_access:  read_only
        .address_space:  global
        .offset:         56
        .size:           8
        .value_kind:     global_buffer
      - .offset:         64
        .size:           8
        .value_kind:     by_value
      - .offset:         72
        .size:           8
        .value_kind:     by_value
      - .address_space:  global
        .offset:         80
        .size:           8
        .value_kind:     global_buffer
      - .offset:         88
        .size:           8
        .value_kind:     by_value
      - .offset:         96
        .size:           4
        .value_kind:     by_value
      - .offset:         100
        .size:           1
        .value_kind:     by_value
    .group_segment_fixed_size: 8192
    .kernarg_segment_align: 8
    .kernarg_segment_size: 104
    .language:       OpenCL C
    .language_version:
      - 2
      - 0
    .max_flat_workgroup_size: 1024
    .name:           _ZN9rocsparseL31gebsrmm_general_blockdim_kernelILi32ELi32EfEEv20rocsparse_direction_20rocsparse_operation_iiNS_24const_host_device_scalarIT1_EEPKiS7_PKS4_iiS9_lS5_PS4_l21rocsparse_index_base_b
    .private_segment_fixed_size: 0
    .sgpr_count:     34
    .sgpr_spill_count: 0
    .symbol:         _ZN9rocsparseL31gebsrmm_general_blockdim_kernelILi32ELi32EfEEv20rocsparse_direction_20rocsparse_operation_iiNS_24const_host_device_scalarIT1_EEPKiS7_PKS4_iiS9_lS5_PS4_l21rocsparse_index_base_b.kd
    .uniform_work_group_size: 1
    .uses_dynamic_stack: false
    .vgpr_count:     34
    .vgpr_spill_count: 0
    .wavefront_size: 32
    .workgroup_processor_mode: 1
  - .args:
      - .offset:         0
        .size:           4
        .value_kind:     by_value
      - .offset:         4
        .size:           4
        .value_kind:     by_value
      - .offset:         8
        .size:           4
        .value_kind:     by_value
      - .offset:         12
        .size:           4
        .value_kind:     by_value
      - .offset:         16
        .size:           8
        .value_kind:     by_value
      - .actual_access:  read_only
        .address_space:  global
        .offset:         24
        .size:           8
        .value_kind:     global_buffer
      - .actual_access:  read_only
        .address_space:  global
        .offset:         32
        .size:           8
        .value_kind:     global_buffer
      - .actual_access:  read_only
        .address_space:  global
        .offset:         40
        .size:           8
        .value_kind:     global_buffer
      - .offset:         48
        .size:           4
        .value_kind:     by_value
      - .offset:         52
        .size:           4
        .value_kind:     by_value
      - .actual_access:  read_only
        .address_space:  global
        .offset:         56
        .size:           8
        .value_kind:     global_buffer
      - .offset:         64
        .size:           8
        .value_kind:     by_value
      - .offset:         72
        .size:           8
        .value_kind:     by_value
      - .address_space:  global
        .offset:         80
        .size:           8
        .value_kind:     global_buffer
      - .offset:         88
        .size:           8
        .value_kind:     by_value
      - .offset:         96
        .size:           4
        .value_kind:     by_value
      - .offset:         100
        .size:           1
        .value_kind:     by_value
    .group_segment_fixed_size: 16384
    .kernarg_segment_align: 8
    .kernarg_segment_size: 104
    .language:       OpenCL C
    .language_version:
      - 2
      - 0
    .max_flat_workgroup_size: 1024
    .name:           _ZN9rocsparseL31gebsrmm_general_blockdim_kernelILi32ELi32EdEEv20rocsparse_direction_20rocsparse_operation_iiNS_24const_host_device_scalarIT1_EEPKiS7_PKS4_iiS9_lS5_PS4_l21rocsparse_index_base_b
    .private_segment_fixed_size: 0
    .sgpr_count:     32
    .sgpr_spill_count: 0
    .symbol:         _ZN9rocsparseL31gebsrmm_general_blockdim_kernelILi32ELi32EdEEv20rocsparse_direction_20rocsparse_operation_iiNS_24const_host_device_scalarIT1_EEPKiS7_PKS4_iiS9_lS5_PS4_l21rocsparse_index_base_b.kd
    .uniform_work_group_size: 1
    .uses_dynamic_stack: false
    .vgpr_count:     35
    .vgpr_spill_count: 0
    .wavefront_size: 32
    .workgroup_processor_mode: 1
  - .args:
      - .offset:         0
        .size:           4
        .value_kind:     by_value
      - .offset:         4
        .size:           4
        .value_kind:     by_value
      - .offset:         8
        .size:           4
        .value_kind:     by_value
      - .offset:         12
        .size:           4
        .value_kind:     by_value
      - .offset:         16
        .size:           8
        .value_kind:     by_value
      - .actual_access:  read_only
        .address_space:  global
        .offset:         24
        .size:           8
        .value_kind:     global_buffer
      - .actual_access:  read_only
        .address_space:  global
        .offset:         32
        .size:           8
        .value_kind:     global_buffer
      - .actual_access:  read_only
        .address_space:  global
        .offset:         40
        .size:           8
        .value_kind:     global_buffer
      - .offset:         48
        .size:           4
        .value_kind:     by_value
      - .offset:         52
        .size:           4
        .value_kind:     by_value
      - .actual_access:  read_only
        .address_space:  global
        .offset:         56
        .size:           8
        .value_kind:     global_buffer
      - .offset:         64
        .size:           8
        .value_kind:     by_value
      - .offset:         72
        .size:           8
        .value_kind:     by_value
      - .address_space:  global
        .offset:         80
        .size:           8
        .value_kind:     global_buffer
      - .offset:         88
        .size:           8
        .value_kind:     by_value
      - .offset:         96
        .size:           4
        .value_kind:     by_value
      - .offset:         100
        .size:           1
        .value_kind:     by_value
    .group_segment_fixed_size: 16384
    .kernarg_segment_align: 8
    .kernarg_segment_size: 104
    .language:       OpenCL C
    .language_version:
      - 2
      - 0
    .max_flat_workgroup_size: 1024
    .name:           _ZN9rocsparseL31gebsrmm_general_blockdim_kernelILi32ELi32E21rocsparse_complex_numIfEEEv20rocsparse_direction_20rocsparse_operation_iiNS_24const_host_device_scalarIT1_EEPKiS9_PKS6_iiSB_lS7_PS6_l21rocsparse_index_base_b
    .private_segment_fixed_size: 0
    .sgpr_count:     31
    .sgpr_spill_count: 0
    .symbol:         _ZN9rocsparseL31gebsrmm_general_blockdim_kernelILi32ELi32E21rocsparse_complex_numIfEEEv20rocsparse_direction_20rocsparse_operation_iiNS_24const_host_device_scalarIT1_EEPKiS9_PKS6_iiSB_lS7_PS6_l21rocsparse_index_base_b.kd
    .uniform_work_group_size: 1
    .uses_dynamic_stack: false
    .vgpr_count:     40
    .vgpr_spill_count: 0
    .wavefront_size: 32
    .workgroup_processor_mode: 1
  - .args:
      - .offset:         0
        .size:           4
        .value_kind:     by_value
      - .offset:         4
        .size:           4
        .value_kind:     by_value
      - .offset:         8
        .size:           4
        .value_kind:     by_value
      - .offset:         12
        .size:           4
        .value_kind:     by_value
      - .offset:         16
        .size:           16
        .value_kind:     by_value
      - .actual_access:  read_only
        .address_space:  global
        .offset:         32
        .size:           8
        .value_kind:     global_buffer
      - .actual_access:  read_only
        .address_space:  global
        .offset:         40
        .size:           8
        .value_kind:     global_buffer
      - .actual_access:  read_only
        .address_space:  global
        .offset:         48
        .size:           8
        .value_kind:     global_buffer
      - .offset:         56
        .size:           4
        .value_kind:     by_value
      - .offset:         60
        .size:           4
        .value_kind:     by_value
      - .actual_access:  read_only
        .address_space:  global
        .offset:         64
        .size:           8
        .value_kind:     global_buffer
      - .offset:         72
        .size:           8
        .value_kind:     by_value
      - .offset:         80
        .size:           16
        .value_kind:     by_value
      - .address_space:  global
        .offset:         96
        .size:           8
        .value_kind:     global_buffer
      - .offset:         104
        .size:           8
        .value_kind:     by_value
      - .offset:         112
        .size:           4
        .value_kind:     by_value
      - .offset:         116
        .size:           1
        .value_kind:     by_value
    .group_segment_fixed_size: 49152
    .kernarg_segment_align: 8
    .kernarg_segment_size: 120
    .language:       OpenCL C
    .language_version:
      - 2
      - 0
    .max_flat_workgroup_size: 1024
    .name:           _ZN9rocsparseL31gebsrmm_general_blockdim_kernelILi32ELi32E21rocsparse_complex_numIdEEEv20rocsparse_direction_20rocsparse_operation_iiNS_24const_host_device_scalarIT1_EEPKiS9_PKS6_iiSB_lS7_PS6_l21rocsparse_index_base_b
    .private_segment_fixed_size: 0
    .sgpr_count:     31
    .sgpr_spill_count: 0
    .symbol:         _ZN9rocsparseL31gebsrmm_general_blockdim_kernelILi32ELi32E21rocsparse_complex_numIdEEEv20rocsparse_direction_20rocsparse_operation_iiNS_24const_host_device_scalarIT1_EEPKiS9_PKS6_iiSB_lS7_PS6_l21rocsparse_index_base_b.kd
    .uniform_work_group_size: 1
    .uses_dynamic_stack: false
    .vgpr_count:     48
    .vgpr_spill_count: 0
    .wavefront_size: 32
    .workgroup_processor_mode: 1
amdhsa.target:   amdgcn-amd-amdhsa--gfx1100
amdhsa.version:
  - 1
  - 2
...

	.end_amdgpu_metadata
